;; amdgpu-corpus repo=ROCm/rocFFT kind=compiled arch=gfx950 opt=O3
	.text
	.amdgcn_target "amdgcn-amd-amdhsa--gfx950"
	.amdhsa_code_object_version 6
	.protected	fft_rtc_fwd_len289_factors_17_17_wgs_119_tpt_17_dp_op_CI_CI_sbrc_z_xy_unaligned_dirReg ; -- Begin function fft_rtc_fwd_len289_factors_17_17_wgs_119_tpt_17_dp_op_CI_CI_sbrc_z_xy_unaligned_dirReg
	.globl	fft_rtc_fwd_len289_factors_17_17_wgs_119_tpt_17_dp_op_CI_CI_sbrc_z_xy_unaligned_dirReg
	.p2align	8
	.type	fft_rtc_fwd_len289_factors_17_17_wgs_119_tpt_17_dp_op_CI_CI_sbrc_z_xy_unaligned_dirReg,@function
fft_rtc_fwd_len289_factors_17_17_wgs_119_tpt_17_dp_op_CI_CI_sbrc_z_xy_unaligned_dirReg: ; @fft_rtc_fwd_len289_factors_17_17_wgs_119_tpt_17_dp_op_CI_CI_sbrc_z_xy_unaligned_dirReg
; %bb.0:
	s_load_dwordx8 s[4:11], s[0:1], 0x8
	s_waitcnt lgkmcnt(0)
	s_load_dwordx4 s[12:15], s[6:7], 0x8
	s_load_dwordx4 s[16:19], s[8:9], 0x0
	s_waitcnt lgkmcnt(0)
	s_load_dword s13, s[8:9], 0x10
	s_add_i32 s3, s12, -1
	s_mul_hi_u32 s6, s3, 0x24924925
	s_sub_i32 s3, s3, s6
	s_lshr_b32 s3, s3, 1
	s_add_i32 s3, s3, s6
	s_lshr_b32 s3, s3, 2
	s_add_i32 s6, s3, 1
	s_mul_i32 s7, s6, s14
	v_cvt_f32_u32_e32 v2, s7
	v_cvt_f32_u32_e32 v1, s6
	s_sub_i32 s14, 0, s7
	v_rcp_iflag_f32_e32 v2, v2
	v_rcp_iflag_f32_e32 v1, v1
	v_mul_f32_e32 v2, 0x4f7ffffe, v2
	v_cvt_u32_f32_e32 v2, v2
	v_mul_f32_e32 v1, 0x4f7ffffe, v1
	v_cvt_u32_f32_e32 v1, v1
	v_readfirstlane_b32 s19, v2
	s_mul_i32 s14, s14, s19
	s_mul_hi_u32 s14, s19, s14
	s_add_i32 s19, s19, s14
	s_mul_hi_u32 s14, s2, s19
	s_mul_i32 s19, s14, s7
	s_sub_i32 s19, s2, s19
	s_add_i32 s20, s14, 1
	s_sub_i32 s21, s19, s7
	s_cmp_ge_u32 s19, s7
	s_cselect_b32 s14, s20, s14
	s_cselect_b32 s19, s21, s19
	s_add_i32 s20, s14, 1
	s_cmp_ge_u32 s19, s7
	v_readfirstlane_b32 s15, v1
	s_cselect_b32 s33, s20, s14
	s_not_b32 s3, s3
	s_mul_i32 s3, s3, s15
	s_mul_i32 s7, s33, s7
	s_mul_hi_u32 s3, s15, s3
	s_sub_i32 s7, s2, s7
	s_add_i32 s15, s15, s3
	s_mul_hi_u32 s3, s7, s15
	s_mul_i32 s14, s3, s6
	s_sub_i32 s7, s7, s14
	s_add_i32 s19, s3, 1
	s_sub_i32 s14, s7, s6
	s_cmp_ge_u32 s7, s6
	s_cselect_b32 s3, s19, s3
	s_cselect_b32 s7, s14, s7
	s_add_i32 s14, s3, 1
	s_cmp_ge_u32 s7, s6
	s_cselect_b32 s64, s14, s3
	s_mul_hi_u32 s3, s2, s15
	s_mul_i32 s3, s3, s6
	s_sub_i32 s2, s2, s3
	s_sub_i32 s3, s2, s6
	s_cmp_ge_u32 s2, s6
	s_cselect_b32 s2, s3, s2
	s_sub_i32 s3, s2, s6
	s_cmp_ge_u32 s2, s6
	s_cselect_b32 s65, s3, s2
	s_mul_i32 s65, s65, 7
	s_waitcnt lgkmcnt(0)
	s_mul_i32 s2, s64, s13
	s_mul_i32 s3, s65, s18
	s_add_i32 s13, s3, s2
	s_lshl_b64 s[4:5], s[4:5], 3
	s_add_u32 s6, s8, s4
	s_addc_u32 s7, s9, s5
	s_load_dwordx2 s[8:9], s[6:7], 0x0
	s_load_dwordx2 s[14:15], s[0:1], 0x58
	s_load_dwordx2 s[2:3], s[10:11], 0x10
	s_waitcnt lgkmcnt(0)
	s_mul_i32 s3, s9, s33
	s_mul_hi_u32 s6, s8, s33
	s_add_i32 s6, s6, s3
	s_mul_i32 s3, s8, s33
	s_add_u32 s20, s3, s13
	s_addc_u32 s21, s6, 0
	s_add_u32 s22, s10, s4
	s_addc_u32 s23, s11, s5
	s_load_dwordx4 s[4:7], s[10:11], 0x0
	s_load_dwordx2 s[8:9], s[22:23], 0x0
	s_add_i32 s3, s65, 7
	s_cmp_le_u32 s3, s12
	s_cselect_b64 s[62:63], -1, 0
	s_mov_b64 s[10:11], -1
	s_and_b64 vcc, exec, s[62:63]
	s_cbranch_vccnz .LBB0_4
; %bb.1:
	s_lshl_b64 s[10:11], s[20:21], 4
	s_add_u32 s10, s14, s10
	s_addc_u32 s11, s15, s11
	s_mov_b64 s[22:23], 0
	s_mov_b32 s3, 0xe2c5
	v_mov_b32_e32 v3, 0
	s_waitcnt lgkmcnt(0)
	s_movk_i32 s7, 0x7e6
	v_mov_b32_e32 v1, v0
.LBB0_2:                                ; =>This Inner Loop Header: Depth=1
	v_mul_u32_u24_sdwa v2, v1, s3 dst_sel:DWORD dst_unused:UNUSED_PAD src0_sel:WORD_0 src1_sel:DWORD
	v_lshrrev_b32_e32 v8, 24, v2
	v_mul_lo_u16_e32 v4, 0x121, v8
	v_sub_u16_e32 v9, v1, v4
	v_mad_u64_u32 v[4:5], s[24:25], s16, v9, 0
	v_mov_b32_e32 v6, v5
	v_mad_u64_u32 v[6:7], s[24:25], s17, v9, v[6:7]
	v_mov_b32_e32 v5, v6
	v_mul_lo_u32 v2, s18, v8
	v_lshl_add_u64 v[4:5], v[4:5], 4, s[10:11]
	v_lshl_add_u64 v[4:5], v[2:3], 4, v[4:5]
	global_load_dwordx4 v[4:7], v[4:5], off
	v_add_u32_e32 v1, 0x77, v1
	v_mad_legacy_u16 v2, v9, 7, v8
	v_cmp_lt_u32_e32 vcc, s7, v1
	v_lshl_add_u32 v2, v2, 4, 0
	s_or_b64 s[22:23], vcc, s[22:23]
	s_waitcnt vmcnt(0)
	ds_write_b128 v2, v[4:7]
	s_andn2_b64 exec, exec, s[22:23]
	s_cbranch_execnz .LBB0_2
; %bb.3:
	s_or_b64 exec, exec, s[22:23]
	s_mov_b64 s[10:11], 0
.LBB0_4:
	s_and_b64 vcc, exec, s[10:11]
	s_cbranch_vccz .LBB0_6
; %bb.5:
	v_and_b32_e32 v1, 0xffff, v0
	v_mad_u64_u32 v[2:3], s[10:11], s16, v1, 0
	v_mov_b32_e32 v4, v3
	v_mad_u64_u32 v[4:5], s[10:11], s17, v1, v[4:5]
	s_lshl_b64 s[10:11], s[20:21], 4
	s_add_u32 s10, s14, s10
	v_mov_b32_e32 v3, v4
	s_addc_u32 s11, s15, s11
	v_add_u16_e32 v1, 0x77, v0
	v_lshl_add_u64 v[10:11], v[2:3], 4, s[10:11]
	v_mad_u64_u32 v[2:3], s[14:15], s16, v1, 0
	v_mov_b32_e32 v4, v3
	v_mad_u64_u32 v[4:5], s[14:15], s17, v1, v[4:5]
	s_mov_b32 s3, 0x16500ee
	v_mov_b32_e32 v3, v4
	v_pk_add_u16 v1, v0, s3 op_sel_hi:[0,1]
	v_lshl_add_u64 v[12:13], v[2:3], 4, s[10:11]
	global_load_dwordx4 v[6:9], v[10:11], off
	global_load_dwordx4 v[2:5], v[12:13], off
	v_and_b32_e32 v10, 0x1ff, v1
	s_waitcnt lgkmcnt(0)
	s_movk_i32 s7, 0xe3
	v_mul_u32_u24_e32 v10, 0xe3, v10
	v_mul_u32_u24_sdwa v11, v1, s7 dst_sel:DWORD dst_unused:UNUSED_PAD src0_sel:WORD_1 src1_sel:DWORD
	s_mov_b32 s13, 0x7060302
	v_perm_b32 v72, v11, v10, s13
	s_movk_i32 s3, 0x121
	v_lshrrev_b32_e32 v14, 16, v10
	v_pk_mul_lo_u16 v10, v72, s3 op_sel_hi:[1,0]
	v_lshrrev_b32_e32 v15, 16, v11
	v_pk_sub_i16 v1, v1, v10
	v_mul_lo_u32 v26, s18, v14
	v_and_b32_e32 v13, 0xffff, v1
	v_mad_u64_u32 v[10:11], s[14:15], s16, v13, 0
	v_mov_b32_e32 v12, v11
	v_mad_u64_u32 v[12:13], s[14:15], s17, v13, v[12:13]
	v_mov_b32_e32 v11, v12
	v_mov_b32_e32 v27, 0
	v_lshl_add_u64 v[10:11], v[10:11], 4, s[10:11]
	v_lshrrev_b32_e32 v13, 16, v1
	v_lshl_add_u64 v[18:19], v[26:27], 4, v[10:11]
	v_mad_u64_u32 v[10:11], s[14:15], s16, v13, 0
	v_mov_b32_e32 v12, v11
	v_mad_u64_u32 v[12:13], s[14:15], s17, v13, v[12:13]
	v_mov_b32_e32 v11, v12
	v_mul_lo_u32 v26, s18, v15
	v_lshl_add_u64 v[10:11], v[10:11], 4, s[10:11]
	s_mov_b32 s14, 0x25301dc
	v_lshl_add_u64 v[20:21], v[26:27], 4, v[10:11]
	global_load_dwordx4 v[14:17], v[18:19], off
	global_load_dwordx4 v[10:13], v[20:21], off
	v_pk_add_u16 v18, v0, s14 op_sel_hi:[0,1]
	v_and_b32_e32 v19, 0x3ff, v18
	v_mul_u32_u24_e32 v19, 0xe3, v19
	v_mul_u32_u24_sdwa v20, v18, s7 dst_sel:DWORD dst_unused:UNUSED_PAD src0_sel:WORD_1 src1_sel:DWORD
	v_perm_b32 v73, v20, v19, s13
	v_lshrrev_b32_e32 v22, 16, v19
	v_pk_mul_lo_u16 v19, v73, s3 op_sel_hi:[1,0]
	v_lshrrev_b32_e32 v23, 16, v20
	v_pk_sub_i16 v74, v18, v19
	v_mul_lo_u32 v26, s18, v22
	v_and_b32_e32 v21, 0xffff, v74
	v_mad_u64_u32 v[18:19], s[14:15], s16, v21, 0
	v_mov_b32_e32 v20, v19
	v_mad_u64_u32 v[20:21], s[14:15], s17, v21, v[20:21]
	v_mov_b32_e32 v19, v20
	v_lshl_add_u64 v[18:19], v[18:19], 4, s[10:11]
	v_lshrrev_b32_e32 v21, 16, v74
	v_lshl_add_u64 v[28:29], v[26:27], 4, v[18:19]
	v_mad_u64_u32 v[18:19], s[14:15], s16, v21, 0
	v_mov_b32_e32 v20, v19
	v_mad_u64_u32 v[20:21], s[14:15], s17, v21, v[20:21]
	v_mov_b32_e32 v19, v20
	v_mul_lo_u32 v26, s18, v23
	v_lshl_add_u64 v[18:19], v[18:19], 4, s[10:11]
	s_mov_b32 s14, 0x34102ca
	v_lshl_add_u64 v[30:31], v[26:27], 4, v[18:19]
	v_pk_add_u16 v26, v0, s14 op_sel_hi:[0,1]
	global_load_dwordx4 v[22:25], v[28:29], off
	global_load_dwordx4 v[18:21], v[30:31], off
	v_and_b32_e32 v28, 0x3ff, v26
	v_mul_u32_u24_e32 v28, 0xe3, v28
	v_mul_u32_u24_sdwa v29, v26, s7 dst_sel:DWORD dst_unused:UNUSED_PAD src0_sel:WORD_1 src1_sel:DWORD
	v_perm_b32 v75, v29, v28, s13
	v_lshrrev_b32_e32 v32, 16, v28
	v_pk_mul_lo_u16 v28, v75, s3 op_sel_hi:[1,0]
	v_lshrrev_b32_e32 v33, 16, v29
	v_pk_sub_i16 v76, v26, v28
	s_mov_b32 s7, 0x42f03b8
	v_and_b32_e32 v30, 0xffff, v76
	v_mad_u64_u32 v[28:29], s[14:15], s16, v30, 0
	v_mov_b32_e32 v26, v29
	v_mad_u64_u32 v[30:31], s[14:15], s17, v30, v[26:27]
	v_mov_b32_e32 v29, v30
	v_mul_lo_u32 v26, s18, v32
	v_lshl_add_u64 v[28:29], v[28:29], 4, s[10:11]
	v_lshrrev_b32_e32 v30, 16, v76
	v_lshl_add_u64 v[36:37], v[26:27], 4, v[28:29]
	v_mad_u64_u32 v[28:29], s[14:15], s16, v30, 0
	v_mov_b32_e32 v26, v29
	v_mad_u64_u32 v[30:31], s[14:15], s17, v30, v[26:27]
	v_mov_b32_e32 v29, v30
	v_mul_lo_u32 v26, s18, v33
	v_lshl_add_u64 v[28:29], v[28:29], 4, s[10:11]
	v_lshl_add_u64 v[38:39], v[26:27], 4, v[28:29]
	v_pk_add_u16 v26, v0, s7 op_sel_hi:[0,1]
	global_load_dwordx4 v[28:31], v[36:37], off
	global_load_dwordx4 v[32:35], v[38:39], off
	v_and_b32_e32 v36, 0x7ff, v26
	s_movk_i32 s7, 0x717
	v_mul_u32_u24_e32 v36, 0x717, v36
	v_lshrrev_b32_e32 v40, 19, v36
	v_mul_u32_u24_sdwa v36, v26, s7 dst_sel:DWORD dst_unused:UNUSED_PAD src0_sel:WORD_1 src1_sel:DWORD
	v_lshrrev_b32_e32 v41, 19, v36
	s_mov_b32 s13, 0x5040100
	v_perm_b32 v77, v41, v40, s13
	v_pk_mul_lo_u16 v36, v77, s3 op_sel_hi:[1,0]
	v_pk_mad_u16 v1, v1, 7, v72 op_sel_hi:[1,0,1]
	v_pk_sub_i16 v78, v26, v36
	s_nop 0
	v_and_b32_e32 v38, 0xffff, v78
	v_mad_u64_u32 v[36:37], s[14:15], s16, v38, 0
	v_mov_b32_e32 v26, v37
	v_mad_u64_u32 v[38:39], s[14:15], s17, v38, v[26:27]
	v_mov_b32_e32 v37, v38
	v_mul_lo_u32 v26, s18, v40
	v_lshl_add_u64 v[36:37], v[36:37], 4, s[10:11]
	v_lshrrev_b32_e32 v38, 16, v78
	v_lshl_add_u64 v[44:45], v[26:27], 4, v[36:37]
	v_mad_u64_u32 v[36:37], s[14:15], s16, v38, 0
	v_mov_b32_e32 v26, v37
	v_mad_u64_u32 v[38:39], s[14:15], s17, v38, v[26:27]
	v_mov_b32_e32 v37, v38
	v_mul_lo_u32 v26, s18, v41
	v_lshl_add_u64 v[36:37], v[36:37], 4, s[10:11]
	s_mov_b32 s14, 0x51d04a6
	v_lshl_add_u64 v[46:47], v[26:27], 4, v[36:37]
	v_pk_add_u16 v26, v0, s14 op_sel_hi:[0,1]
	global_load_dwordx4 v[36:39], v[44:45], off
	global_load_dwordx4 v[40:43], v[46:47], off
	v_and_b32_e32 v44, 0x5ff, v26
	v_mul_u32_u24_e32 v44, 0x717, v44
	v_lshrrev_b32_e32 v48, 19, v44
	v_mul_u32_u24_sdwa v44, v26, s7 dst_sel:DWORD dst_unused:UNUSED_PAD src0_sel:WORD_1 src1_sel:DWORD
	v_lshrrev_b32_e32 v49, 19, v44
	v_perm_b32 v79, v49, v48, s13
	v_pk_mul_lo_u16 v44, v79, s3 op_sel_hi:[1,0]
	s_nop 0
	v_pk_sub_i16 v80, v26, v44
	s_nop 0
	v_and_b32_e32 v46, 0xffff, v80
	v_mad_u64_u32 v[44:45], s[14:15], s16, v46, 0
	v_mov_b32_e32 v26, v45
	v_mad_u64_u32 v[46:47], s[14:15], s17, v46, v[26:27]
	v_mov_b32_e32 v45, v46
	v_mul_lo_u32 v26, s18, v48
	v_lshl_add_u64 v[44:45], v[44:45], 4, s[10:11]
	v_lshrrev_b32_e32 v46, 16, v80
	v_lshl_add_u64 v[52:53], v[26:27], 4, v[44:45]
	v_mad_u64_u32 v[44:45], s[14:15], s16, v46, 0
	v_mov_b32_e32 v26, v45
	v_mad_u64_u32 v[46:47], s[14:15], s17, v46, v[26:27]
	v_mov_b32_e32 v45, v46
	v_mul_lo_u32 v26, s18, v49
	v_lshl_add_u64 v[44:45], v[44:45], 4, s[10:11]
	s_mov_b32 s14, 0x60b0594
	v_lshl_add_u64 v[54:55], v[26:27], 4, v[44:45]
	v_pk_add_u16 v26, v0, s14 op_sel_hi:[0,1]
	global_load_dwordx4 v[44:47], v[52:53], off
	global_load_dwordx4 v[48:51], v[54:55], off
	v_and_b32_e32 v52, 0x7ff, v26
	v_mul_u32_u24_e32 v52, 0x717, v52
	v_lshrrev_b32_e32 v56, 19, v52
	v_mul_u32_u24_sdwa v52, v26, s7 dst_sel:DWORD dst_unused:UNUSED_PAD src0_sel:WORD_1 src1_sel:DWORD
	v_lshrrev_b32_e32 v57, 19, v52
	v_perm_b32 v81, v57, v56, s13
	v_pk_mul_lo_u16 v52, v81, s3 op_sel_hi:[1,0]
	s_nop 0
	;; [unrolled: 30-line block ×3, first 2 shown]
	v_pk_sub_i16 v84, v26, v60
	s_nop 0
	v_and_b32_e32 v62, 0xffff, v84
	v_mad_u64_u32 v[60:61], s[14:15], s16, v62, 0
	v_mov_b32_e32 v26, v61
	v_mad_u64_u32 v[62:63], s[14:15], s17, v62, v[26:27]
	v_mov_b32_e32 v61, v62
	v_mul_lo_u32 v26, s18, v64
	v_lshl_add_u64 v[60:61], v[60:61], 4, s[10:11]
	v_lshrrev_b32_e32 v62, 16, v84
	v_lshl_add_u64 v[68:69], v[26:27], 4, v[60:61]
	v_mad_u64_u32 v[60:61], s[14:15], s16, v62, 0
	v_mov_b32_e32 v26, v61
	v_mad_u64_u32 v[62:63], s[14:15], s17, v62, v[26:27]
	v_mov_b32_e32 v61, v62
	v_mul_lo_u32 v26, s18, v65
	v_lshl_add_u64 v[60:61], v[60:61], 4, s[10:11]
	v_lshl_add_u64 v[70:71], v[26:27], 4, v[60:61]
	v_add_u16_e32 v26, 0x770, v0
	global_load_dwordx4 v[60:63], v[68:69], off
	global_load_dwordx4 v[64:67], v[70:71], off
	v_mul_u32_u24_e32 v68, 0x717, v26
	v_lshrrev_b32_e32 v85, 19, v68
	v_mul_lo_u16_e32 v68, 0x121, v85
	v_sub_u16_e32 v86, v26, v68
	v_mad_u64_u32 v[68:69], s[14:15], s16, v86, 0
	v_mov_b32_e32 v26, v69
	v_mad_u64_u32 v[70:71], s[14:15], s17, v86, v[26:27]
	v_mov_b32_e32 v69, v70
	v_mul_lo_u32 v26, s18, v85
	v_lshl_add_u64 v[68:69], v[68:69], 4, s[10:11]
	v_lshl_add_u64 v[26:27], v[26:27], 4, v[68:69]
	global_load_dwordx4 v[68:71], v[26:27], off
	v_mul_lo_u16_e32 v26, 7, v0
	v_lshl_add_u32 v26, v26, 4, 0
	s_waitcnt vmcnt(16)
	ds_write_b128 v26, v[6:9]
	v_mov_b32_e32 v6, 0x341
	v_mad_legacy_u16 v6, v0, 7, v6
	v_lshl_add_u32 v6, v6, 4, 0
	s_waitcnt vmcnt(15)
	ds_write_b128 v6, v[2:5]
	v_and_b32_e32 v2, 0xffff, v1
	v_bfe_u32 v1, v1, 16, 16
	v_lshl_add_u32 v2, v2, 4, 0
	v_lshl_add_u32 v1, v1, 4, 0
	s_waitcnt vmcnt(14)
	ds_write_b128 v2, v[14:17]
	s_waitcnt vmcnt(13)
	ds_write_b128 v1, v[10:13]
	v_pk_mad_u16 v1, v74, 7, v73 op_sel_hi:[1,0,1]
	s_nop 0
	v_and_b32_e32 v2, 0xffff, v1
	v_bfe_u32 v1, v1, 16, 16
	v_lshl_add_u32 v2, v2, 4, 0
	v_lshl_add_u32 v1, v1, 4, 0
	s_waitcnt vmcnt(12)
	ds_write_b128 v2, v[22:25]
	s_waitcnt vmcnt(11)
	ds_write_b128 v1, v[18:21]
	v_pk_mad_u16 v1, v76, 7, v75 op_sel_hi:[1,0,1]
	s_nop 0
	;; [unrolled: 10-line block ×6, first 2 shown]
	v_and_b32_e32 v2, 0xffff, v1
	v_bfe_u32 v1, v1, 16, 16
	v_lshl_add_u32 v2, v2, 4, 0
	v_lshl_add_u32 v1, v1, 4, 0
	s_waitcnt vmcnt(2)
	ds_write_b128 v2, v[60:63]
	s_waitcnt vmcnt(1)
	ds_write_b128 v1, v[64:67]
	v_mad_legacy_u16 v1, v86, 7, v85
	v_lshl_add_u32 v1, v1, 4, 0
	s_waitcnt vmcnt(0)
	ds_write_b128 v1, v[68:71]
.LBB0_6:
	s_movk_i32 s3, 0x2493
	v_mul_u32_u24_sdwa v1, v0, s3 dst_sel:DWORD dst_unused:UNUSED_PAD src0_sel:WORD_0 src1_sel:DWORD
	v_mov_b32_e32 v2, 7
	v_mul_lo_u16_sdwa v1, v1, v2 dst_sel:DWORD dst_unused:UNUSED_PAD src0_sel:WORD_1 src1_sel:DWORD
	s_mov_b32 s3, 0x24924925
	v_sub_u16_e32 v1, v0, v1
	v_mul_hi_u32 v126, v0, s3
	v_mul_u32_u24_e32 v2, 0x70, v126
	v_lshlrev_b32_e32 v127, 4, v1
	v_add3_u32 v132, 0, v2, v127
	s_waitcnt lgkmcnt(0)
	s_barrier
	ds_read_b128 v[6:9], v132
	ds_read_b128 v[62:65], v132 offset:1904
	ds_read_b128 v[54:57], v132 offset:3808
	;; [unrolled: 1-line block ×11, first 2 shown]
	s_waitcnt lgkmcnt(10)
	v_add_f64 v[4:5], v[8:9], v[64:65]
	v_add_f64 v[2:3], v[6:7], v[62:63]
	s_waitcnt lgkmcnt(9)
	v_add_f64 v[4:5], v[4:5], v[56:57]
	v_add_f64 v[2:3], v[2:3], v[54:55]
	;; [unrolled: 3-line block ×6, first 2 shown]
	s_waitcnt lgkmcnt(4)
	v_add_f64 v[4:5], v[4:5], v[20:21]
	ds_read_b128 v[42:45], v132 offset:22848
	ds_read_b128 v[50:53], v132 offset:24752
	v_add_f64 v[2:3], v[2:3], v[18:19]
	s_waitcnt lgkmcnt(5)
	v_add_f64 v[4:5], v[4:5], v[12:13]
	v_add_f64 v[2:3], v[2:3], v[10:11]
	s_waitcnt lgkmcnt(4)
	v_add_f64 v[4:5], v[4:5], v[16:17]
	ds_read_b128 v[58:61], v132 offset:26656
	ds_read_b128 v[66:69], v132 offset:28560
	;; [unrolled: 1-line block ×3, first 2 shown]
	v_add_f64 v[2:3], v[2:3], v[14:15]
	s_waitcnt lgkmcnt(6)
	v_add_f64 v[4:5], v[4:5], v[24:25]
	v_add_f64 v[2:3], v[2:3], v[22:23]
	s_waitcnt lgkmcnt(5)
	v_add_f64 v[4:5], v[4:5], v[32:33]
	;; [unrolled: 3-line block ×4, first 2 shown]
	s_mov_b32 s18, 0x5d8e7cdc
	s_mov_b32 s22, 0x2a9d6da3
	;; [unrolled: 1-line block ×8, first 2 shown]
	v_add_f64 v[2:3], v[2:3], v[50:51]
	s_waitcnt lgkmcnt(2)
	v_add_f64 v[4:5], v[4:5], v[60:61]
	s_waitcnt lgkmcnt(0)
	v_add_f64 v[100:101], v[64:65], -v[72:73]
	s_mov_b32 s19, 0xbfd71e95
	s_mov_b32 s10, 0x370991
	;; [unrolled: 1-line block ×16, first 2 shown]
	v_add_f64 v[2:3], v[2:3], v[58:59]
	v_add_f64 v[4:5], v[4:5], v[68:69]
	;; [unrolled: 1-line block ×3, first 2 shown]
	v_add_f64 v[92:93], v[62:63], -v[70:71]
	v_add_f64 v[80:81], v[26:27], v[30:31]
	v_add_f64 v[82:83], v[26:27], -v[30:31]
	v_add_f64 v[88:89], v[18:19], v[22:23]
	;; [unrolled: 2-line block ×3, first 2 shown]
	v_add_f64 v[106:107], v[10:11], -v[14:15]
	s_mov_b32 s11, 0x3fedd6d0
	v_mul_f64 v[10:11], v[100:101], s[18:19]
	s_mov_b32 s15, 0x3fe7a5f6
	v_mul_f64 v[14:15], v[100:101], s[22:23]
	;; [unrolled: 2-line block ×7, first 2 shown]
	v_mul_f64 v[130:131], v[100:101], s[44:45]
	s_mov_b32 s39, 0xbfef7484
	v_add_f64 v[2:3], v[2:3], v[66:67]
	v_add_f64 v[4:5], v[4:5], v[72:73]
	;; [unrolled: 1-line block ×4, first 2 shown]
	v_add_f64 v[54:55], v[54:55], -v[66:67]
	v_add_f64 v[66:67], v[48:49], v[60:61]
	v_add_f64 v[48:49], v[48:49], -v[60:61]
	v_add_f64 v[60:61], v[38:39], v[50:51]
	;; [unrolled: 2-line block ×6, first 2 shown]
	v_add_f64 v[108:109], v[12:13], -v[16:17]
	v_fma_f64 v[12:13], v[94:95], s[10:11], -v[10:11]
	v_fmac_f64_e32 v[10:11], s[10:11], v[94:95]
	v_fma_f64 v[16:17], v[94:95], s[14:15], -v[14:15]
	v_fmac_f64_e32 v[14:15], s[14:15], v[94:95]
	v_fma_f64 v[20:21], v[94:95], s[16:17], -v[18:19]
	v_fmac_f64_e32 v[18:19], s[16:17], v[94:95]
	v_fma_f64 v[24:25], v[94:95], s[20:21], -v[22:23]
	v_fmac_f64_e32 v[22:23], s[20:21], v[94:95]
	v_fma_f64 v[28:29], v[94:95], s[24:25], -v[26:27]
	v_fmac_f64_e32 v[26:27], s[24:25], v[94:95]
	v_fma_f64 v[112:113], v[94:95], s[28:29], -v[110:111]
	v_fmac_f64_e32 v[110:111], s[28:29], v[94:95]
	v_fma_f64 v[114:115], v[94:95], s[34:35], -v[128:129]
	v_fmac_f64_e32 v[128:129], s[34:35], v[94:95]
	v_fma_f64 v[100:101], v[94:95], s[38:39], -v[130:131]
	v_fmac_f64_e32 v[130:131], s[38:39], v[94:95]
	v_mul_f64 v[30:31], v[92:93], s[18:19]
	v_mul_f64 v[34:35], v[92:93], s[22:23]
	v_mul_f64 v[38:39], v[92:93], s[26:27]
	v_mul_f64 v[42:43], v[92:93], s[30:31]
	v_mul_f64 v[94:95], v[92:93], s[36:37]
	v_mul_f64 v[118:119], v[92:93], s[40:41]
	v_add_f64 v[2:3], v[2:3], v[70:71]
	v_add_f64 v[62:63], v[56:57], v[68:69]
	v_add_f64 v[56:57], v[56:57], -v[68:69]
	v_add_f64 v[68:69], v[46:47], v[58:59]
	v_add_f64 v[46:47], v[46:47], -v[58:59]
	;; [unrolled: 2-line block ×4, first 2 shown]
	v_fma_f64 v[32:33], s[10:11], v[90:91], v[30:31]
	v_fma_f64 v[30:31], v[90:91], s[10:11], -v[30:31]
	v_fma_f64 v[36:37], s[14:15], v[90:91], v[34:35]
	v_fma_f64 v[34:35], v[90:91], s[14:15], -v[34:35]
	v_fma_f64 v[40:41], s[16:17], v[90:91], v[38:39]
	v_fma_f64 v[44:45], s[20:21], v[90:91], v[42:43]
	v_fma_f64 v[42:43], v[90:91], s[20:21], -v[42:43]
	v_fma_f64 v[116:117], s[24:25], v[90:91], v[94:95]
	v_fma_f64 v[120:121], s[28:29], v[90:91], v[118:119]
	v_mul_f64 v[122:123], v[92:93], s[42:43]
	v_mul_f64 v[92:93], v[92:93], s[44:45]
	v_fma_f64 v[38:39], v[90:91], s[16:17], -v[38:39]
	v_fma_f64 v[94:95], v[90:91], s[24:25], -v[94:95]
	;; [unrolled: 1-line block ×3, first 2 shown]
	v_fma_f64 v[134:135], s[34:35], v[90:91], v[122:123]
	v_fma_f64 v[136:137], v[90:91], s[34:35], -v[122:123]
	v_fma_f64 v[138:139], s[38:39], v[90:91], v[92:93]
	v_fma_f64 v[90:91], v[90:91], s[38:39], -v[92:93]
	v_add_f64 v[12:13], v[6:7], v[12:13]
	v_add_f64 v[140:141], v[8:9], v[32:33]
	;; [unrolled: 1-line block ×25, first 2 shown]
	v_mul_f64 v[6:7], v[56:57], s[22:23]
	v_add_f64 v[156:157], v[8:9], v[38:39]
	v_add_f64 v[38:39], v[8:9], v[94:95]
	;; [unrolled: 1-line block ×7, first 2 shown]
	v_fma_f64 v[8:9], v[64:65], s[14:15], -v[6:7]
	v_mul_f64 v[18:19], v[54:55], s[22:23]
	v_mul_f64 v[20:21], v[48:49], s[26:27]
	v_add_f64 v[8:9], v[8:9], v[12:13]
	v_fma_f64 v[10:11], s[14:15], v[62:63], v[18:19]
	v_fma_f64 v[12:13], v[68:69], s[16:17], -v[20:21]
	v_mul_f64 v[22:23], v[46:47], s[26:27]
	v_add_f64 v[10:11], v[10:11], v[140:141]
	v_add_f64 v[8:9], v[12:13], v[8:9]
	v_fma_f64 v[12:13], s[16:17], v[66:67], v[22:23]
	v_mul_f64 v[24:25], v[52:53], s[30:31]
	v_add_f64 v[10:11], v[12:13], v[10:11]
	v_fma_f64 v[12:13], v[60:61], s[20:21], -v[24:25]
	v_mul_f64 v[26:27], v[50:51], s[30:31]
	v_add_f64 v[8:9], v[12:13], v[8:9]
	v_fma_f64 v[12:13], s[20:21], v[58:59], v[26:27]
	v_mul_f64 v[28:29], v[76:77], s[36:37]
	v_add_f64 v[10:11], v[12:13], v[10:11]
	v_fma_f64 v[12:13], v[72:73], s[24:25], -v[28:29]
	v_mul_f64 v[128:129], v[74:75], s[36:37]
	v_add_f64 v[8:9], v[12:13], v[8:9]
	v_fma_f64 v[12:13], s[24:25], v[70:71], v[128:129]
	v_mul_f64 v[130:131], v[84:85], s[40:41]
	v_fmac_f64_e32 v[6:7], s[14:15], v[64:65]
	v_add_f64 v[10:11], v[12:13], v[10:11]
	v_fma_f64 v[12:13], v[80:81], s[28:29], -v[130:131]
	v_mul_f64 v[134:135], v[82:83], s[40:41]
	v_add_f64 v[6:7], v[6:7], v[142:143]
	v_fma_f64 v[18:19], v[62:63], s[14:15], -v[18:19]
	v_fmac_f64_e32 v[20:21], s[16:17], v[68:69]
	v_add_f64 v[8:9], v[12:13], v[8:9]
	v_fma_f64 v[12:13], s[28:29], v[78:79], v[134:135]
	v_mul_f64 v[136:137], v[98:99], s[42:43]
	v_add_f64 v[18:19], v[18:19], v[144:145]
	v_add_f64 v[6:7], v[20:21], v[6:7]
	v_fma_f64 v[20:21], v[66:67], s[16:17], -v[22:23]
	v_add_f64 v[10:11], v[12:13], v[10:11]
	v_fma_f64 v[12:13], v[88:89], s[34:35], -v[136:137]
	v_mul_f64 v[138:139], v[96:97], s[42:43]
	v_add_f64 v[18:19], v[20:21], v[18:19]
	v_fma_f64 v[20:21], v[58:59], s[20:21], -v[26:27]
	v_add_f64 v[8:9], v[12:13], v[8:9]
	v_fma_f64 v[12:13], s[34:35], v[86:87], v[138:139]
	v_mul_f64 v[140:141], v[108:109], s[44:45]
	v_add_f64 v[18:19], v[20:21], v[18:19]
	v_fma_f64 v[20:21], v[70:71], s[24:25], -v[128:129]
	v_add_f64 v[12:13], v[12:13], v[10:11]
	v_fma_f64 v[10:11], v[104:105], s[38:39], -v[140:141]
	;; [unrolled: 2-line block ×3, first 2 shown]
	v_add_f64 v[10:11], v[10:11], v[8:9]
	v_mul_f64 v[8:9], v[106:107], s[44:45]
	v_add_f64 v[18:19], v[20:21], v[18:19]
	v_fma_f64 v[20:21], v[86:87], s[34:35], -v[138:139]
	v_fma_f64 v[158:159], s[38:39], v[102:103], v[8:9]
	v_fmac_f64_e32 v[24:25], s[20:21], v[60:61]
	v_add_f64 v[18:19], v[20:21], v[18:19]
	v_fma_f64 v[8:9], v[102:103], s[38:39], -v[8:9]
	v_mul_f64 v[22:23], v[56:57], s[30:31]
	v_add_f64 v[6:7], v[24:25], v[6:7]
	v_fmac_f64_e32 v[28:29], s[24:25], v[72:73]
	v_add_f64 v[8:9], v[8:9], v[18:19]
	v_fma_f64 v[18:19], v[64:65], s[20:21], -v[22:23]
	v_mul_f64 v[24:25], v[54:55], s[30:31]
	v_mul_f64 v[26:27], v[48:49], s[40:41]
	v_add_f64 v[6:7], v[28:29], v[6:7]
	v_add_f64 v[16:17], v[18:19], v[16:17]
	v_fma_f64 v[18:19], s[20:21], v[62:63], v[24:25]
	v_fma_f64 v[20:21], v[68:69], s[28:29], -v[26:27]
	v_mul_f64 v[28:29], v[46:47], s[40:41]
	v_fmac_f64_e32 v[130:131], s[28:29], v[80:81]
	v_add_f64 v[18:19], v[18:19], v[146:147]
	v_add_f64 v[16:17], v[20:21], v[16:17]
	v_fma_f64 v[20:21], s[28:29], v[66:67], v[28:29]
	v_mul_f64 v[128:129], v[52:53], s[44:45]
	v_add_f64 v[6:7], v[130:131], v[6:7]
	v_add_f64 v[18:19], v[20:21], v[18:19]
	v_fma_f64 v[20:21], v[60:61], s[38:39], -v[128:129]
	v_mul_f64 v[130:131], v[50:51], s[44:45]
	s_mov_b32 s47, 0x3fe0d888
	s_mov_b32 s46, s42
	v_fmac_f64_e32 v[136:137], s[34:35], v[88:89]
	v_add_f64 v[16:17], v[20:21], v[16:17]
	v_fma_f64 v[20:21], s[38:39], v[58:59], v[130:131]
	v_mul_f64 v[134:135], v[76:77], s[46:47]
	v_add_f64 v[6:7], v[136:137], v[6:7]
	v_add_f64 v[18:19], v[20:21], v[18:19]
	v_fma_f64 v[20:21], v[72:73], s[34:35], -v[134:135]
	v_mul_f64 v[136:137], v[74:75], s[46:47]
	s_mov_b32 s49, 0x3feec746
	s_mov_b32 s48, s36
	v_fmac_f64_e32 v[140:141], s[38:39], v[104:105]
	v_add_f64 v[16:17], v[20:21], v[16:17]
	v_fma_f64 v[20:21], s[34:35], v[70:71], v[136:137]
	v_mul_f64 v[138:139], v[84:85], s[48:49]
	v_fmac_f64_e32 v[22:23], s[20:21], v[64:65]
	v_add_f64 v[6:7], v[140:141], v[6:7]
	v_add_f64 v[18:19], v[20:21], v[18:19]
	v_fma_f64 v[20:21], v[80:81], s[24:25], -v[138:139]
	v_mul_f64 v[140:141], v[82:83], s[48:49]
	s_mov_b32 s51, 0x3feca52d
	s_mov_b32 s50, s26
	v_add_f64 v[14:15], v[22:23], v[14:15]
	v_fma_f64 v[22:23], v[62:63], s[20:21], -v[24:25]
	v_add_f64 v[16:17], v[20:21], v[16:17]
	v_fma_f64 v[20:21], s[24:25], v[78:79], v[140:141]
	v_mul_f64 v[142:143], v[98:99], s[50:51]
	v_add_f64 v[22:23], v[22:23], v[148:149]
	v_fma_f64 v[24:25], v[66:67], s[28:29], -v[28:29]
	v_add_f64 v[18:19], v[20:21], v[18:19]
	v_fma_f64 v[20:21], v[88:89], s[16:17], -v[142:143]
	v_mul_f64 v[144:145], v[96:97], s[50:51]
	s_mov_b32 s53, 0x3fd71e95
	s_mov_b32 s52, s18
	v_add_f64 v[22:23], v[24:25], v[22:23]
	v_fma_f64 v[24:25], v[58:59], s[38:39], -v[130:131]
	v_add_f64 v[16:17], v[20:21], v[16:17]
	v_fma_f64 v[20:21], s[16:17], v[86:87], v[144:145]
	v_mul_f64 v[146:147], v[108:109], s[52:53]
	v_add_f64 v[22:23], v[24:25], v[22:23]
	v_fma_f64 v[24:25], v[70:71], s[34:35], -v[136:137]
	v_add_f64 v[20:21], v[20:21], v[18:19]
	v_fma_f64 v[18:19], v[104:105], s[10:11], -v[146:147]
	v_add_f64 v[22:23], v[24:25], v[22:23]
	v_fma_f64 v[24:25], v[78:79], s[24:25], -v[140:141]
	v_add_f64 v[18:19], v[18:19], v[16:17]
	v_mul_f64 v[16:17], v[106:107], s[52:53]
	v_add_f64 v[22:23], v[24:25], v[22:23]
	v_fma_f64 v[24:25], v[86:87], s[16:17], -v[144:145]
	v_add_f64 v[12:13], v[158:159], v[12:13]
	v_fma_f64 v[158:159], s[10:11], v[102:103], v[16:17]
	v_fmac_f64_e32 v[26:27], s[28:29], v[68:69]
	v_add_f64 v[22:23], v[24:25], v[22:23]
	v_fma_f64 v[16:17], v[102:103], s[10:11], -v[16:17]
	v_add_f64 v[14:15], v[26:27], v[14:15]
	v_fmac_f64_e32 v[128:129], s[38:39], v[60:61]
	v_add_f64 v[16:17], v[16:17], v[22:23]
	v_mul_f64 v[22:23], v[56:57], s[40:41]
	s_mov_b32 s55, 0x3fc7851a
	s_mov_b32 s54, s44
	v_add_f64 v[14:15], v[128:129], v[14:15]
	v_fmac_f64_e32 v[134:135], s[34:35], v[72:73]
	v_fma_f64 v[24:25], v[64:65], s[28:29], -v[22:23]
	v_mul_f64 v[128:129], v[54:55], s[40:41]
	v_mul_f64 v[130:131], v[48:49], s[54:55]
	v_add_f64 v[14:15], v[134:135], v[14:15]
	v_add_f64 v[24:25], v[24:25], v[150:151]
	v_fma_f64 v[26:27], s[28:29], v[62:63], v[128:129]
	v_fma_f64 v[28:29], v[68:69], s[38:39], -v[130:131]
	v_mul_f64 v[134:135], v[46:47], s[54:55]
	v_fmac_f64_e32 v[138:139], s[24:25], v[80:81]
	v_add_f64 v[26:27], v[26:27], v[152:153]
	v_add_f64 v[24:25], v[28:29], v[24:25]
	v_fma_f64 v[28:29], s[38:39], v[66:67], v[134:135]
	v_mul_f64 v[136:137], v[52:53], s[48:49]
	v_add_f64 v[14:15], v[138:139], v[14:15]
	v_add_f64 v[26:27], v[28:29], v[26:27]
	v_fma_f64 v[28:29], v[60:61], s[24:25], -v[136:137]
	v_mul_f64 v[138:139], v[50:51], s[48:49]
	s_mov_b32 s57, 0x3fe58eea
	s_mov_b32 s56, s22
	v_fmac_f64_e32 v[142:143], s[16:17], v[88:89]
	v_add_f64 v[24:25], v[28:29], v[24:25]
	v_fma_f64 v[28:29], s[24:25], v[58:59], v[138:139]
	v_mul_f64 v[140:141], v[76:77], s[56:57]
	v_add_f64 v[14:15], v[142:143], v[14:15]
	v_add_f64 v[26:27], v[28:29], v[26:27]
	v_fma_f64 v[28:29], v[72:73], s[14:15], -v[140:141]
	v_mul_f64 v[142:143], v[74:75], s[56:57]
	v_fmac_f64_e32 v[146:147], s[10:11], v[104:105]
	v_add_f64 v[24:25], v[28:29], v[24:25]
	v_fma_f64 v[28:29], s[14:15], v[70:71], v[142:143]
	v_mul_f64 v[144:145], v[84:85], s[18:19]
	v_fmac_f64_e32 v[22:23], s[28:29], v[64:65]
	v_add_f64 v[14:15], v[146:147], v[14:15]
	v_add_f64 v[26:27], v[28:29], v[26:27]
	v_fma_f64 v[28:29], v[80:81], s[10:11], -v[144:145]
	v_mul_f64 v[146:147], v[82:83], s[18:19]
	v_add_f64 v[22:23], v[22:23], v[154:155]
	v_fma_f64 v[128:129], v[62:63], s[28:29], -v[128:129]
	v_fmac_f64_e32 v[130:131], s[38:39], v[68:69]
	v_add_f64 v[24:25], v[28:29], v[24:25]
	v_fma_f64 v[28:29], s[10:11], v[78:79], v[146:147]
	v_mul_f64 v[148:149], v[98:99], s[30:31]
	v_add_f64 v[128:129], v[128:129], v[156:157]
	v_add_f64 v[22:23], v[130:131], v[22:23]
	v_fma_f64 v[130:131], v[66:67], s[38:39], -v[134:135]
	v_add_f64 v[26:27], v[28:29], v[26:27]
	v_fma_f64 v[28:29], v[88:89], s[20:21], -v[148:149]
	v_mul_f64 v[150:151], v[96:97], s[30:31]
	v_add_f64 v[128:129], v[130:131], v[128:129]
	v_fma_f64 v[130:131], v[58:59], s[24:25], -v[138:139]
	v_add_f64 v[24:25], v[28:29], v[24:25]
	v_fma_f64 v[28:29], s[20:21], v[86:87], v[150:151]
	v_mul_f64 v[152:153], v[108:109], s[42:43]
	v_add_f64 v[128:129], v[130:131], v[128:129]
	v_fma_f64 v[130:131], v[70:71], s[14:15], -v[142:143]
	v_add_f64 v[28:29], v[28:29], v[26:27]
	v_fma_f64 v[26:27], v[104:105], s[34:35], -v[152:153]
	;; [unrolled: 2-line block ×3, first 2 shown]
	v_add_f64 v[26:27], v[26:27], v[24:25]
	v_mul_f64 v[24:25], v[106:107], s[42:43]
	v_add_f64 v[128:129], v[130:131], v[128:129]
	v_fma_f64 v[130:131], v[86:87], s[20:21], -v[150:151]
	v_add_f64 v[20:21], v[158:159], v[20:21]
	v_fma_f64 v[158:159], s[34:35], v[102:103], v[24:25]
	v_add_f64 v[128:129], v[130:131], v[128:129]
	v_fma_f64 v[24:25], v[102:103], s[34:35], -v[24:25]
	v_add_f64 v[24:25], v[24:25], v[128:129]
	v_mul_f64 v[128:129], v[56:57], s[44:45]
	v_fma_f64 v[130:131], v[64:65], s[38:39], -v[128:129]
	v_add_f64 v[36:37], v[130:131], v[36:37]
	v_mul_f64 v[130:131], v[54:55], s[44:45]
	v_fma_f64 v[134:135], s[38:39], v[62:63], v[130:131]
	v_fmac_f64_e32 v[136:137], s[24:25], v[60:61]
	v_add_f64 v[34:35], v[134:135], v[34:35]
	v_mul_f64 v[134:135], v[48:49], s[48:49]
	v_add_f64 v[22:23], v[136:137], v[22:23]
	v_fma_f64 v[136:137], v[68:69], s[24:25], -v[134:135]
	v_add_f64 v[36:37], v[136:137], v[36:37]
	v_mul_f64 v[136:137], v[46:47], s[48:49]
	v_fma_f64 v[138:139], s[24:25], v[66:67], v[136:137]
	v_fmac_f64_e32 v[140:141], s[14:15], v[72:73]
	v_add_f64 v[34:35], v[138:139], v[34:35]
	v_mul_f64 v[138:139], v[52:53], s[52:53]
	v_add_f64 v[22:23], v[140:141], v[22:23]
	;; [unrolled: 8-line block ×4, first 2 shown]
	v_fma_f64 v[148:149], v[80:81], s[34:35], -v[146:147]
	v_add_f64 v[36:37], v[148:149], v[36:37]
	v_mul_f64 v[148:149], v[82:83], s[42:43]
	v_fmac_f64_e32 v[128:129], s[38:39], v[64:65]
	v_fma_f64 v[150:151], s[34:35], v[78:79], v[148:149]
	s_mov_b32 s59, 0x3fe9895b
	s_mov_b32 s58, s40
	v_add_f64 v[32:33], v[128:129], v[32:33]
	v_fma_f64 v[128:129], v[62:63], s[38:39], -v[130:131]
	v_fmac_f64_e32 v[134:135], s[24:25], v[68:69]
	v_fmac_f64_e32 v[152:153], s[34:35], v[104:105]
	v_add_f64 v[34:35], v[150:151], v[34:35]
	v_mul_f64 v[150:151], v[98:99], s[58:59]
	v_add_f64 v[30:31], v[128:129], v[30:31]
	v_add_f64 v[32:33], v[134:135], v[32:33]
	v_fma_f64 v[128:129], v[66:67], s[24:25], -v[136:137]
	v_fmac_f64_e32 v[138:139], s[10:11], v[60:61]
	v_add_f64 v[22:23], v[152:153], v[22:23]
	v_fma_f64 v[152:153], v[88:89], s[28:29], -v[150:151]
	v_add_f64 v[30:31], v[128:129], v[30:31]
	v_add_f64 v[32:33], v[138:139], v[32:33]
	v_fma_f64 v[128:129], v[58:59], s[10:11], -v[140:141]
	v_fmac_f64_e32 v[142:143], s[16:17], v[72:73]
	v_add_f64 v[36:37], v[152:153], v[36:37]
	v_mul_f64 v[152:153], v[96:97], s[58:59]
	v_add_f64 v[30:31], v[128:129], v[30:31]
	v_add_f64 v[32:33], v[142:143], v[32:33]
	v_fma_f64 v[128:129], v[70:71], s[16:17], -v[144:145]
	v_fmac_f64_e32 v[146:147], s[34:35], v[80:81]
	v_fma_f64 v[154:155], s[28:29], v[86:87], v[152:153]
	v_mul_f64 v[156:157], v[108:109], s[56:57]
	v_add_f64 v[30:31], v[128:129], v[30:31]
	v_add_f64 v[32:33], v[146:147], v[32:33]
	v_fma_f64 v[128:129], v[78:79], s[34:35], -v[148:149]
	v_fmac_f64_e32 v[150:151], s[28:29], v[88:89]
	v_add_f64 v[28:29], v[158:159], v[28:29]
	v_add_f64 v[154:155], v[154:155], v[34:35]
	v_fma_f64 v[34:35], v[104:105], s[14:15], -v[156:157]
	v_mul_f64 v[158:159], v[106:107], s[56:57]
	v_add_f64 v[30:31], v[128:129], v[30:31]
	v_add_f64 v[32:33], v[150:151], v[32:33]
	v_fma_f64 v[128:129], v[86:87], s[28:29], -v[152:153]
	v_fmac_f64_e32 v[156:157], s[14:15], v[104:105]
	v_add_f64 v[128:129], v[128:129], v[30:31]
	v_add_f64 v[30:31], v[156:157], v[32:33]
	v_fma_f64 v[32:33], v[102:103], s[14:15], -v[158:159]
	v_add_f64 v[32:33], v[32:33], v[128:129]
	v_mul_f64 v[128:129], v[56:57], s[46:47]
	v_fma_f64 v[130:131], v[64:65], s[34:35], -v[128:129]
	v_add_f64 v[44:45], v[130:131], v[44:45]
	v_mul_f64 v[130:131], v[54:55], s[46:47]
	v_fma_f64 v[134:135], s[34:35], v[62:63], v[130:131]
	v_add_f64 v[42:43], v[134:135], v[42:43]
	v_mul_f64 v[134:135], v[48:49], s[56:57]
	v_fma_f64 v[136:137], v[68:69], s[14:15], -v[134:135]
	v_add_f64 v[44:45], v[136:137], v[44:45]
	v_mul_f64 v[136:137], v[46:47], s[56:57]
	v_fma_f64 v[138:139], s[14:15], v[66:67], v[136:137]
	;; [unrolled: 6-line block ×4, first 2 shown]
	s_mov_b32 s61, 0x3fefdd0d
	s_mov_b32 s60, s30
	v_add_f64 v[42:43], v[146:147], v[42:43]
	v_mul_f64 v[146:147], v[84:85], s[60:61]
	v_fma_f64 v[148:149], v[80:81], s[20:21], -v[146:147]
	v_add_f64 v[44:45], v[148:149], v[44:45]
	v_mul_f64 v[148:149], v[82:83], s[60:61]
	v_fmac_f64_e32 v[128:129], s[34:35], v[64:65]
	v_fma_f64 v[150:151], s[20:21], v[78:79], v[148:149]
	v_add_f64 v[40:41], v[128:129], v[40:41]
	v_fma_f64 v[128:129], v[62:63], s[34:35], -v[130:131]
	v_fmac_f64_e32 v[134:135], s[14:15], v[68:69]
	v_add_f64 v[42:43], v[150:151], v[42:43]
	v_mul_f64 v[150:151], v[98:99], s[18:19]
	v_add_f64 v[38:39], v[128:129], v[38:39]
	v_add_f64 v[40:41], v[134:135], v[40:41]
	v_fma_f64 v[128:129], v[66:67], s[14:15], -v[136:137]
	v_fmac_f64_e32 v[138:139], s[16:17], v[60:61]
	v_fma_f64 v[152:153], v[88:89], s[10:11], -v[150:151]
	v_add_f64 v[38:39], v[128:129], v[38:39]
	v_add_f64 v[40:41], v[138:139], v[40:41]
	v_fma_f64 v[128:129], v[58:59], s[16:17], -v[140:141]
	v_fmac_f64_e32 v[142:143], s[38:39], v[72:73]
	v_add_f64 v[34:35], v[34:35], v[36:37]
	v_fma_f64 v[36:37], s[14:15], v[102:103], v[158:159]
	v_add_f64 v[44:45], v[152:153], v[44:45]
	v_mul_f64 v[152:153], v[96:97], s[18:19]
	v_add_f64 v[38:39], v[128:129], v[38:39]
	v_add_f64 v[40:41], v[142:143], v[40:41]
	v_fma_f64 v[128:129], v[70:71], s[38:39], -v[144:145]
	v_fmac_f64_e32 v[146:147], s[20:21], v[80:81]
	v_add_f64 v[36:37], v[36:37], v[154:155]
	v_fma_f64 v[154:155], s[10:11], v[86:87], v[152:153]
	v_mul_f64 v[156:157], v[108:109], s[40:41]
	v_add_f64 v[38:39], v[128:129], v[38:39]
	v_add_f64 v[40:41], v[146:147], v[40:41]
	v_fma_f64 v[128:129], v[78:79], s[20:21], -v[148:149]
	v_fmac_f64_e32 v[150:151], s[10:11], v[88:89]
	v_add_f64 v[154:155], v[154:155], v[42:43]
	v_fma_f64 v[42:43], v[104:105], s[28:29], -v[156:157]
	v_mul_f64 v[158:159], v[106:107], s[40:41]
	v_add_f64 v[38:39], v[128:129], v[38:39]
	v_add_f64 v[40:41], v[150:151], v[40:41]
	v_fma_f64 v[128:129], v[86:87], s[10:11], -v[152:153]
	v_fmac_f64_e32 v[156:157], s[28:29], v[104:105]
	v_add_f64 v[128:129], v[128:129], v[38:39]
	v_add_f64 v[38:39], v[156:157], v[40:41]
	v_fma_f64 v[40:41], v[102:103], s[28:29], -v[158:159]
	v_add_f64 v[40:41], v[40:41], v[128:129]
	v_mul_f64 v[128:129], v[56:57], s[48:49]
	v_fma_f64 v[130:131], v[64:65], s[24:25], -v[128:129]
	v_add_f64 v[124:125], v[130:131], v[124:125]
	v_mul_f64 v[130:131], v[54:55], s[48:49]
	v_fma_f64 v[134:135], s[24:25], v[62:63], v[130:131]
	v_add_f64 v[122:123], v[134:135], v[122:123]
	v_mul_f64 v[134:135], v[48:49], s[18:19]
	v_fma_f64 v[136:137], v[68:69], s[10:11], -v[134:135]
	v_add_f64 v[124:125], v[136:137], v[124:125]
	v_mul_f64 v[136:137], v[46:47], s[18:19]
	v_fma_f64 v[138:139], s[10:11], v[66:67], v[136:137]
	;; [unrolled: 6-line block ×4, first 2 shown]
	v_add_f64 v[122:123], v[146:147], v[122:123]
	v_mul_f64 v[146:147], v[84:85], s[22:23]
	v_fma_f64 v[148:149], v[80:81], s[14:15], -v[146:147]
	v_add_f64 v[124:125], v[148:149], v[124:125]
	v_mul_f64 v[148:149], v[82:83], s[22:23]
	v_fmac_f64_e32 v[128:129], s[24:25], v[64:65]
	v_fma_f64 v[150:151], s[14:15], v[78:79], v[148:149]
	v_add_f64 v[120:121], v[128:129], v[120:121]
	v_fma_f64 v[128:129], v[62:63], s[24:25], -v[130:131]
	v_fmac_f64_e32 v[134:135], s[10:11], v[68:69]
	v_add_f64 v[122:123], v[150:151], v[122:123]
	v_mul_f64 v[150:151], v[98:99], s[44:45]
	v_add_f64 v[118:119], v[128:129], v[118:119]
	v_add_f64 v[120:121], v[134:135], v[120:121]
	v_fma_f64 v[128:129], v[66:67], s[10:11], -v[136:137]
	v_fmac_f64_e32 v[138:139], s[34:35], v[60:61]
	v_fma_f64 v[152:153], v[88:89], s[38:39], -v[150:151]
	v_add_f64 v[118:119], v[128:129], v[118:119]
	v_add_f64 v[120:121], v[138:139], v[120:121]
	v_fma_f64 v[128:129], v[58:59], s[34:35], -v[140:141]
	v_fmac_f64_e32 v[142:143], s[20:21], v[72:73]
	v_add_f64 v[42:43], v[42:43], v[44:45]
	v_fma_f64 v[44:45], s[28:29], v[102:103], v[158:159]
	v_add_f64 v[124:125], v[152:153], v[124:125]
	v_mul_f64 v[152:153], v[96:97], s[44:45]
	v_add_f64 v[118:119], v[128:129], v[118:119]
	v_add_f64 v[120:121], v[142:143], v[120:121]
	v_fma_f64 v[128:129], v[70:71], s[20:21], -v[144:145]
	v_fmac_f64_e32 v[146:147], s[14:15], v[80:81]
	v_add_f64 v[44:45], v[44:45], v[154:155]
	v_fma_f64 v[154:155], s[38:39], v[86:87], v[152:153]
	v_mul_f64 v[156:157], v[108:109], s[50:51]
	v_add_f64 v[118:119], v[128:129], v[118:119]
	v_add_f64 v[120:121], v[146:147], v[120:121]
	v_fma_f64 v[128:129], v[78:79], s[14:15], -v[148:149]
	v_fmac_f64_e32 v[150:151], s[38:39], v[88:89]
	v_add_f64 v[154:155], v[154:155], v[122:123]
	v_fma_f64 v[122:123], v[104:105], s[16:17], -v[156:157]
	v_mul_f64 v[158:159], v[106:107], s[50:51]
	v_add_f64 v[118:119], v[128:129], v[118:119]
	v_add_f64 v[120:121], v[150:151], v[120:121]
	v_fma_f64 v[128:129], v[86:87], s[38:39], -v[152:153]
	v_fmac_f64_e32 v[156:157], s[16:17], v[104:105]
	v_add_f64 v[128:129], v[128:129], v[118:119]
	v_add_f64 v[118:119], v[156:157], v[120:121]
	v_fma_f64 v[120:121], v[102:103], s[16:17], -v[158:159]
	v_add_f64 v[120:121], v[120:121], v[128:129]
	v_mul_f64 v[128:129], v[56:57], s[50:51]
	v_fma_f64 v[130:131], v[64:65], s[16:17], -v[128:129]
	v_add_f64 v[116:117], v[130:131], v[116:117]
	v_mul_f64 v[130:131], v[54:55], s[50:51]
	v_fma_f64 v[134:135], s[16:17], v[62:63], v[130:131]
	v_add_f64 v[114:115], v[134:135], v[114:115]
	v_mul_f64 v[134:135], v[48:49], s[30:31]
	v_fma_f64 v[136:137], v[68:69], s[20:21], -v[134:135]
	v_add_f64 v[116:117], v[136:137], v[116:117]
	v_mul_f64 v[136:137], v[46:47], s[30:31]
	v_fma_f64 v[138:139], s[20:21], v[66:67], v[136:137]
	;; [unrolled: 6-line block ×4, first 2 shown]
	v_add_f64 v[114:115], v[146:147], v[114:115]
	v_mul_f64 v[146:147], v[84:85], s[44:45]
	v_fma_f64 v[148:149], v[80:81], s[38:39], -v[146:147]
	v_add_f64 v[116:117], v[148:149], v[116:117]
	v_mul_f64 v[148:149], v[82:83], s[44:45]
	v_fmac_f64_e32 v[128:129], s[16:17], v[64:65]
	v_fma_f64 v[150:151], s[38:39], v[78:79], v[148:149]
	v_add_f64 v[112:113], v[128:129], v[112:113]
	v_fma_f64 v[128:129], v[62:63], s[16:17], -v[130:131]
	v_fmac_f64_e32 v[134:135], s[20:21], v[68:69]
	v_add_f64 v[114:115], v[150:151], v[114:115]
	v_mul_f64 v[150:151], v[98:99], s[56:57]
	v_add_f64 v[110:111], v[128:129], v[110:111]
	v_add_f64 v[112:113], v[134:135], v[112:113]
	v_fma_f64 v[128:129], v[66:67], s[20:21], -v[136:137]
	v_fmac_f64_e32 v[138:139], s[28:29], v[60:61]
	v_fma_f64 v[152:153], v[88:89], s[14:15], -v[150:151]
	v_add_f64 v[110:111], v[128:129], v[110:111]
	v_add_f64 v[112:113], v[138:139], v[112:113]
	v_fma_f64 v[128:129], v[58:59], s[28:29], -v[140:141]
	v_fmac_f64_e32 v[142:143], s[10:11], v[72:73]
	v_add_f64 v[122:123], v[122:123], v[124:125]
	v_fma_f64 v[124:125], s[16:17], v[102:103], v[158:159]
	v_add_f64 v[116:117], v[152:153], v[116:117]
	v_mul_f64 v[152:153], v[96:97], s[56:57]
	v_add_f64 v[110:111], v[128:129], v[110:111]
	v_add_f64 v[112:113], v[142:143], v[112:113]
	v_fma_f64 v[128:129], v[70:71], s[10:11], -v[144:145]
	v_fmac_f64_e32 v[146:147], s[38:39], v[80:81]
	v_add_f64 v[124:125], v[124:125], v[154:155]
	v_fma_f64 v[154:155], s[14:15], v[86:87], v[152:153]
	v_mul_f64 v[156:157], v[108:109], s[36:37]
	v_add_f64 v[110:111], v[128:129], v[110:111]
	v_add_f64 v[112:113], v[146:147], v[112:113]
	v_fma_f64 v[128:129], v[78:79], s[38:39], -v[148:149]
	v_fmac_f64_e32 v[150:151], s[14:15], v[88:89]
	v_add_f64 v[154:155], v[154:155], v[114:115]
	v_fma_f64 v[114:115], v[104:105], s[24:25], -v[156:157]
	v_mul_f64 v[158:159], v[106:107], s[36:37]
	v_add_f64 v[110:111], v[128:129], v[110:111]
	v_add_f64 v[112:113], v[150:151], v[112:113]
	v_fma_f64 v[128:129], v[86:87], s[14:15], -v[152:153]
	v_fmac_f64_e32 v[156:157], s[24:25], v[104:105]
	v_add_f64 v[128:129], v[128:129], v[110:111]
	v_add_f64 v[110:111], v[156:157], v[112:113]
	v_fma_f64 v[112:113], v[102:103], s[24:25], -v[158:159]
	v_mul_f64 v[56:57], v[56:57], s[52:53]
	v_add_f64 v[112:113], v[112:113], v[128:129]
	v_fma_f64 v[128:129], v[64:65], s[10:11], -v[56:57]
	v_mul_f64 v[54:55], v[54:55], s[52:53]
	v_add_f64 v[100:101], v[128:129], v[100:101]
	v_fma_f64 v[128:129], s[10:11], v[62:63], v[54:55]
	v_add_f64 v[94:95], v[128:129], v[94:95]
	v_mul_f64 v[128:129], v[48:49], s[42:43]
	v_fma_f64 v[48:49], v[68:69], s[34:35], -v[128:129]
	v_add_f64 v[48:49], v[48:49], v[100:101]
	v_mul_f64 v[100:101], v[46:47], s[42:43]
	v_fma_f64 v[46:47], s[34:35], v[66:67], v[100:101]
	v_mul_f64 v[52:53], v[52:53], s[56:57]
	v_add_f64 v[46:47], v[46:47], v[94:95]
	v_fma_f64 v[94:95], v[60:61], s[14:15], -v[52:53]
	v_mul_f64 v[50:51], v[50:51], s[56:57]
	v_add_f64 v[48:49], v[94:95], v[48:49]
	v_fma_f64 v[94:95], s[14:15], v[58:59], v[50:51]
	v_mul_f64 v[76:77], v[76:77], s[40:41]
	v_add_f64 v[46:47], v[94:95], v[46:47]
	v_fma_f64 v[94:95], v[72:73], s[28:29], -v[76:77]
	v_mul_f64 v[74:75], v[74:75], s[40:41]
	v_add_f64 v[48:49], v[94:95], v[48:49]
	v_fma_f64 v[94:95], s[28:29], v[70:71], v[74:75]
	v_mul_f64 v[84:85], v[84:85], s[50:51]
	v_fmac_f64_e32 v[56:57], s[10:11], v[64:65]
	v_fma_f64 v[54:55], v[62:63], s[10:11], -v[54:55]
	v_add_f64 v[46:47], v[94:95], v[46:47]
	v_fma_f64 v[94:95], v[80:81], s[16:17], -v[84:85]
	v_mul_f64 v[82:83], v[82:83], s[50:51]
	v_add_f64 v[56:57], v[56:57], v[92:93]
	v_add_f64 v[54:55], v[54:55], v[90:91]
	v_fmac_f64_e32 v[128:129], s[34:35], v[68:69]
	v_fma_f64 v[62:63], v[66:67], s[34:35], -v[100:101]
	v_add_f64 v[48:49], v[94:95], v[48:49]
	v_fma_f64 v[94:95], s[16:17], v[78:79], v[82:83]
	v_add_f64 v[56:57], v[128:129], v[56:57]
	v_add_f64 v[54:55], v[62:63], v[54:55]
	v_fmac_f64_e32 v[52:53], s[14:15], v[60:61]
	v_fma_f64 v[50:51], v[58:59], s[14:15], -v[50:51]
	v_add_f64 v[46:47], v[94:95], v[46:47]
	v_mul_f64 v[94:95], v[98:99], s[36:37]
	v_add_f64 v[52:53], v[52:53], v[56:57]
	v_add_f64 v[50:51], v[50:51], v[54:55]
	v_fmac_f64_e32 v[76:77], s[28:29], v[72:73]
	v_fma_f64 v[54:55], v[70:71], s[28:29], -v[74:75]
	v_fma_f64 v[98:99], v[88:89], s[24:25], -v[94:95]
	v_mul_f64 v[96:97], v[96:97], s[36:37]
	v_add_f64 v[52:53], v[76:77], v[52:53]
	v_add_f64 v[50:51], v[54:55], v[50:51]
	v_fmac_f64_e32 v[84:85], s[16:17], v[80:81]
	v_fma_f64 v[54:55], v[78:79], s[16:17], -v[82:83]
	v_add_f64 v[48:49], v[98:99], v[48:49]
	v_fma_f64 v[98:99], s[24:25], v[86:87], v[96:97]
	v_mul_f64 v[108:109], v[108:109], s[60:61]
	v_mul_f64 v[106:107], v[106:107], s[60:61]
	v_add_f64 v[52:53], v[84:85], v[52:53]
	v_add_f64 v[50:51], v[54:55], v[50:51]
	v_fmac_f64_e32 v[94:95], s[24:25], v[88:89]
	v_fma_f64 v[54:55], v[86:87], s[24:25], -v[96:97]
	v_add_f64 v[98:99], v[98:99], v[46:47]
	v_fma_f64 v[46:47], v[104:105], s[20:21], -v[108:109]
	v_add_f64 v[52:53], v[94:95], v[52:53]
	v_add_f64 v[54:55], v[54:55], v[50:51]
	v_fmac_f64_e32 v[108:109], s[20:21], v[104:105]
	v_fma_f64 v[56:57], v[102:103], s[20:21], -v[106:107]
	v_add_f64 v[50:51], v[108:109], v[52:53]
	v_add_f64 v[52:53], v[56:57], v[54:55]
	v_mul_u32_u24_e32 v54, 0x770, v126
	v_add3_u32 v54, 0, v54, v127
	s_barrier
	ds_write_b128 v54, v[2:5]
	ds_write_b128 v54, v[10:13] offset:112
	ds_write_b128 v54, v[18:21] offset:224
	;; [unrolled: 1-line block ×3, first 2 shown]
	v_add_u32_e32 v2, s65, v1
	v_cmp_gt_u32_e32 vcc, s12, v2
	v_add_f64 v[114:115], v[114:115], v[116:117]
	v_fma_f64 v[116:117], s[24:25], v[102:103], v[158:159]
	v_add_f64 v[46:47], v[46:47], v[48:49]
	v_fma_f64 v[48:49], s[20:21], v[102:103], v[106:107]
	s_mov_b32 s7, 0
	s_or_b64 s[12:13], s[62:63], vcc
	v_add_f64 v[116:117], v[116:117], v[154:155]
	v_add_f64 v[48:49], v[48:49], v[98:99]
	ds_write_b128 v54, v[34:37] offset:448
	ds_write_b128 v54, v[42:45] offset:560
	;; [unrolled: 1-line block ×13, first 2 shown]
	s_waitcnt lgkmcnt(0)
	s_barrier
	s_and_saveexec_b64 s[62:63], s[12:13]
	s_cbranch_execz .LBB0_8
; %bb.7:
	s_mov_b32 s3, 0xf0f0f10
	s_load_dwordx2 s[12:13], s[0:1], 0x0
	v_mul_hi_u32 v2, v126, s3
	v_mul_u32_u24_e32 v2, 17, v2
	v_sub_u32_e32 v186, v126, v2
	v_lshlrev_b32_e32 v2, 8, v186
	s_waitcnt lgkmcnt(0)
	global_load_dwordx4 v[4:7], v2, s[12:13] offset:112
	global_load_dwordx4 v[8:11], v2, s[12:13] offset:128
	;; [unrolled: 1-line block ×12, first 2 shown]
	ds_read_b128 v[52:55], v132 offset:15232
	ds_read_b128 v[56:59], v132 offset:17136
	;; [unrolled: 1-line block ×6, first 2 shown]
	global_load_dwordx4 v[114:117], v2, s[12:13] offset:16
	global_load_dwordx4 v[120:123], v2, s[12:13] offset:224
	ds_read_b128 v[104:107], v132 offset:9520
	ds_read_b128 v[108:111], v132 offset:7616
	;; [unrolled: 1-line block ×5, first 2 shown]
	global_load_dwordx4 v[142:145], v2, s[12:13] offset:240
	global_load_dwordx4 v[146:149], v2, s[12:13]
	s_load_dwordx2 s[0:1], s[0:1], 0x60
	s_mul_i32 s3, s5, s65
	s_mul_hi_u32 s12, s4, s65
	s_add_i32 s13, s12, s3
	s_mul_i32 s3, s9, s33
	s_mul_hi_u32 s9, s8, s33
	s_mul_i32 s12, s4, s65
	s_add_i32 s9, s9, s3
	s_mov_b32 s3, 0x226b903
	v_mul_hi_u32 v0, v0, s3
	s_movk_i32 s3, 0x121
	s_mul_i32 s6, s64, s6
	v_mad_u32_u24 v0, v0, s3, v186
	s_mul_i32 s8, s8, s33
	v_mul_lo_u32 v0, v0, s2
	s_waitcnt vmcnt(15) lgkmcnt(0)
	v_mul_f64 v[62:63], v[52:53], v[6:7]
	v_mul_f64 v[2:3], v[54:55], v[6:7]
	v_fmac_f64_e32 v[62:63], v[54:55], v[4:5]
	v_fma_f64 v[68:69], v[52:53], v[4:5], -v[2:3]
	ds_read_b128 v[2:5], v132 offset:5712
	s_waitcnt vmcnt(14)
	v_mul_f64 v[64:65], v[56:57], v[10:11]
	v_mul_f64 v[6:7], v[58:59], v[10:11]
	s_waitcnt vmcnt(13)
	v_mul_f64 v[72:73], v[76:77], v[14:15]
	s_waitcnt vmcnt(12)
	v_mul_f64 v[66:67], v[94:95], v[18:19]
	v_mul_f64 v[10:11], v[78:79], v[14:15]
	;; [unrolled: 1-line block ×3, first 2 shown]
	v_fmac_f64_e32 v[64:65], v[58:59], v[8:9]
	v_fma_f64 v[70:71], v[56:57], v[8:9], -v[6:7]
	ds_read_b128 v[6:9], v132 offset:3808
	s_waitcnt vmcnt(7)
	v_mul_f64 v[98:99], v[108:109], v[38:39]
	v_fmac_f64_e32 v[72:73], v[78:79], v[12:13]
	v_fmac_f64_e32 v[66:67], v[96:97], v[16:17]
	v_fma_f64 v[78:79], v[76:77], v[12:13], -v[10:11]
	v_fma_f64 v[76:77], v[94:95], v[16:17], -v[14:15]
	ds_read_b128 v[14:17], v132 offset:28560
	v_mul_f64 v[82:83], v[88:89], v[22:23]
	v_mul_f64 v[74:75], v[100:101], v[26:27]
	;; [unrolled: 1-line block ×9, first 2 shown]
	v_fmac_f64_e32 v[98:99], v[110:111], v[36:37]
	s_waitcnt vmcnt(5) lgkmcnt(2)
	v_mul_f64 v[110:111], v[2:3], v[46:47]
	v_fmac_f64_e32 v[110:111], v[4:5], v[44:45]
	v_mul_f64 v[4:5], v[4:5], v[46:47]
	v_fma_f64 v[96:97], v[104:105], v[28:29], -v[26:27]
	v_fma_f64 v[104:105], v[2:3], v[44:45], -v[4:5]
	s_waitcnt vmcnt(4)
	v_mul_f64 v[2:3], v[136:137], v[50:51]
	v_fmac_f64_e32 v[74:75], v[102:103], v[24:25]
	v_fma_f64 v[102:103], v[134:135], v[48:49], -v[2:3]
	s_waitcnt vmcnt(3) lgkmcnt(1)
	v_mul_f64 v[118:119], v[6:7], v[116:117]
	v_mul_f64 v[2:3], v[8:9], v[116:117]
	v_fmac_f64_e32 v[118:119], v[8:9], v[114:115]
	v_fma_f64 v[114:115], v[6:7], v[114:115], -v[2:3]
	s_waitcnt vmcnt(2) lgkmcnt(0)
	v_mul_f64 v[6:7], v[16:17], v[122:123]
	ds_read_b128 v[10:13], v132
	ds_read_b128 v[2:5], v132 offset:1904
	v_fma_f64 v[84:85], v[100:101], v[24:25], -v[22:23]
	v_fma_f64 v[100:101], v[108:109], v[36:37], -v[34:35]
	;; [unrolled: 1-line block ×3, first 2 shown]
	ds_read_b128 v[6:9], v132 offset:30464
	v_mul_f64 v[112:113], v[14:15], v[122:123]
	s_waitcnt vmcnt(0) lgkmcnt(1)
	v_mul_f64 v[132:133], v[2:3], v[148:149]
	v_fmac_f64_e32 v[112:113], v[16:17], v[120:121]
	v_fmac_f64_e32 v[132:133], v[4:5], v[146:147]
	s_waitcnt lgkmcnt(0)
	v_mul_f64 v[120:121], v[6:7], v[144:145]
	v_mul_f64 v[4:5], v[4:5], v[148:149]
	v_fmac_f64_e32 v[120:121], v[8:9], v[142:143]
	v_fma_f64 v[122:123], v[2:3], v[146:147], -v[4:5]
	v_mul_f64 v[2:3], v[8:9], v[144:145]
	v_fmac_f64_e32 v[92:93], v[106:107], v[28:29]
	v_mul_f64 v[106:107], v[134:135], v[50:51]
	v_add_f64 v[170:171], v[132:133], v[120:121]
	v_fma_f64 v[116:117], v[6:7], v[142:143], -v[2:3]
	v_mul_f64 v[86:87], v[128:129], v[42:43]
	v_mul_f64 v[38:39], v[130:131], v[42:43]
	v_fmac_f64_e32 v[106:107], v[136:137], v[48:49]
	v_add_f64 v[162:163], v[118:119], v[112:113]
	v_mul_f64 v[16:17], v[170:171], s[38:39]
	v_add_f64 v[146:147], v[122:123], -v[116:117]
	v_fmac_f64_e32 v[86:87], v[130:131], v[40:41]
	v_fma_f64 v[94:95], v[128:129], v[40:41], -v[38:39]
	v_add_f64 v[158:159], v[110:111], v[106:107]
	v_mul_f64 v[38:39], v[162:163], s[10:11]
	v_add_f64 v[136:137], v[114:115], -v[108:109]
	v_fma_f64 v[2:3], s[54:55], v[146:147], v[16:17]
	v_fmac_f64_e32 v[80:81], v[126:127], v[32:33]
	v_add_f64 v[140:141], v[98:99], v[86:87]
	v_mul_f64 v[34:35], v[158:159], s[34:35]
	v_add_f64 v[134:135], v[104:105], -v[102:103]
	v_fma_f64 v[14:15], s[18:19], v[136:137], v[38:39]
	v_add_f64 v[2:3], v[12:13], v[2:3]
	v_fmac_f64_e32 v[16:17], s[44:45], v[146:147]
	v_fmac_f64_e32 v[82:83], v[90:91], v[20:21]
	v_fma_f64 v[90:91], v[88:89], v[20:21], -v[18:19]
	v_fma_f64 v[88:89], v[124:125], v[32:33], -v[30:31]
	v_add_f64 v[138:139], v[92:93], v[80:81]
	v_add_f64 v[130:131], v[100:101], -v[94:95]
	v_mul_f64 v[24:25], v[140:141], s[14:15]
	v_fma_f64 v[36:37], s[46:47], v[134:135], v[34:35]
	v_add_f64 v[2:3], v[14:15], v[2:3]
	v_fmac_f64_e32 v[38:39], s[52:53], v[136:137]
	v_add_f64 v[16:17], v[12:13], v[16:17]
	v_add_f64 v[128:129], v[96:97], -v[88:89]
	v_mul_f64 v[22:23], v[138:139], s[28:29]
	v_fma_f64 v[32:33], s[22:23], v[130:131], v[24:25]
	v_add_f64 v[2:3], v[36:37], v[2:3]
	v_add_f64 v[16:17], v[38:39], v[16:17]
	v_fmac_f64_e32 v[34:35], s[42:43], v[134:135]
	v_add_f64 v[60:61], v[82:83], v[74:75]
	v_fma_f64 v[30:31], s[58:59], v[128:129], v[22:23]
	v_add_f64 v[2:3], v[32:33], v[2:3]
	v_add_f64 v[184:185], v[132:133], -v[120:121]
	v_add_f64 v[16:17], v[34:35], v[16:17]
	v_fmac_f64_e32 v[24:25], s[56:57], v[130:131]
	v_add_f64 v[58:59], v[72:73], v[66:67]
	v_add_f64 v[126:127], v[90:91], -v[84:85]
	v_mul_f64 v[20:21], v[60:61], s[16:17]
	v_add_f64 v[2:3], v[30:31], v[2:3]
	v_add_f64 v[180:181], v[118:119], -v[112:113]
	v_add_f64 v[152:153], v[122:123], v[116:117]
	v_mul_f64 v[30:31], v[184:185], s[44:45]
	v_add_f64 v[16:17], v[24:25], v[16:17]
	v_fmac_f64_e32 v[22:23], s[40:41], v[128:129]
	v_add_f64 v[124:125], v[78:79], -v[76:77]
	v_mul_f64 v[18:19], v[58:59], s[24:25]
	v_fma_f64 v[28:29], s[26:27], v[126:127], v[20:21]
	v_add_f64 v[172:173], v[110:111], -v[106:107]
	v_add_f64 v[144:145], v[114:115], v[108:109]
	v_mul_f64 v[8:9], v[180:181], s[52:53]
	v_fma_f64 v[32:33], s[38:39], v[152:153], v[30:31]
	v_add_f64 v[16:17], v[22:23], v[16:17]
	v_fmac_f64_e32 v[20:21], s[50:51], v[126:127]
	v_fma_f64 v[26:27], s[48:49], v[124:125], v[18:19]
	v_add_f64 v[2:3], v[28:29], v[2:3]
	v_add_f64 v[168:169], v[98:99], -v[86:87]
	v_add_f64 v[142:143], v[104:105], v[102:103]
	v_mul_f64 v[28:29], v[172:173], s[42:43]
	v_fma_f64 v[4:5], s[10:11], v[144:145], v[8:9]
	v_add_f64 v[32:33], v[10:11], v[32:33]
	v_add_f64 v[16:17], v[20:21], v[16:17]
	v_fmac_f64_e32 v[18:19], s[36:37], v[124:125]
	v_add_f64 v[2:3], v[26:27], v[2:3]
	v_add_f64 v[164:165], v[92:93], -v[80:81]
	v_add_f64 v[156:157], v[100:101], v[94:95]
	v_mul_f64 v[26:27], v[168:169], s[56:57]
	v_add_f64 v[4:5], v[4:5], v[32:33]
	v_fma_f64 v[32:33], s[34:35], v[142:143], v[28:29]
	v_add_f64 v[16:17], v[18:19], v[16:17]
	v_fma_f64 v[18:19], v[152:153], s[38:39], -v[30:31]
	v_add_f64 v[160:161], v[82:83], -v[74:75]
	v_add_f64 v[154:155], v[96:97], v[88:89]
	v_mul_f64 v[14:15], v[164:165], s[40:41]
	v_add_f64 v[4:5], v[32:33], v[4:5]
	v_fma_f64 v[32:33], s[14:15], v[156:157], v[26:27]
	v_fma_f64 v[8:9], v[144:145], s[10:11], -v[8:9]
	v_add_f64 v[18:19], v[10:11], v[18:19]
	v_add_f64 v[150:151], v[90:91], v[84:85]
	v_mul_f64 v[6:7], v[160:161], s[50:51]
	v_add_f64 v[4:5], v[32:33], v[4:5]
	v_fma_f64 v[32:33], s[28:29], v[154:155], v[14:15]
	v_add_f64 v[18:19], v[8:9], v[18:19]
	v_fma_f64 v[24:25], v[142:143], s[34:35], -v[28:29]
	v_add_f64 v[4:5], v[32:33], v[4:5]
	v_fma_f64 v[32:33], s[16:17], v[150:151], v[6:7]
	v_add_f64 v[176:177], v[72:73], -v[66:67]
	v_fma_f64 v[22:23], v[156:157], s[14:15], -v[26:27]
	v_add_f64 v[18:19], v[24:25], v[18:19]
	v_add_f64 v[148:149], v[78:79], v[76:77]
	;; [unrolled: 1-line block ×3, first 2 shown]
	v_mul_f64 v[32:33], v[176:177], s[36:37]
	v_add_f64 v[178:179], v[62:63], v[64:65]
	v_fma_f64 v[14:15], v[154:155], s[28:29], -v[14:15]
	v_add_f64 v[18:19], v[22:23], v[18:19]
	v_fma_f64 v[36:37], s[24:25], v[148:149], v[32:33]
	v_mul_f64 v[40:41], v[178:179], s[20:21]
	v_add_f64 v[174:175], v[68:69], -v[70:71]
	v_add_f64 v[182:183], v[62:63], -v[64:65]
	v_fma_f64 v[6:7], v[150:151], s[16:17], -v[6:7]
	v_add_f64 v[14:15], v[14:15], v[18:19]
	v_add_f64 v[36:37], v[36:37], v[4:5]
	v_fma_f64 v[4:5], s[30:31], v[174:175], v[40:41]
	v_add_f64 v[166:167], v[68:69], v[70:71]
	v_mul_f64 v[42:43], v[182:183], s[60:61]
	v_fmac_f64_e32 v[40:41], s[60:61], v[174:175]
	v_fma_f64 v[20:21], v[148:149], s[24:25], -v[32:33]
	v_add_f64 v[6:7], v[6:7], v[14:15]
	v_add_f64 v[8:9], v[40:41], v[16:17]
	v_fma_f64 v[16:17], v[166:167], s[20:21], -v[42:43]
	v_add_f64 v[6:7], v[20:21], v[6:7]
	v_mul_f64 v[26:27], v[170:171], s[34:35]
	v_add_f64 v[6:7], v[16:17], v[6:7]
	v_mul_f64 v[24:25], v[162:163], s[16:17]
	v_fma_f64 v[16:17], s[46:47], v[146:147], v[26:27]
	v_mul_f64 v[22:23], v[158:159], s[20:21]
	v_fma_f64 v[14:15], s[26:27], v[136:137], v[24:25]
	v_add_f64 v[16:17], v[12:13], v[16:17]
	v_mul_f64 v[20:21], v[140:141], s[28:29]
	v_add_f64 v[14:15], v[14:15], v[16:17]
	v_fma_f64 v[16:17], s[60:61], v[134:135], v[22:23]
	v_mul_f64 v[18:19], v[138:139], s[10:11]
	v_add_f64 v[14:15], v[16:17], v[14:15]
	v_fma_f64 v[16:17], s[40:41], v[130:131], v[20:21]
	v_add_f64 v[14:15], v[16:17], v[14:15]
	v_fma_f64 v[16:17], s[52:53], v[128:129], v[18:19]
	v_mul_f64 v[28:29], v[60:61], s[38:39]
	v_add_f64 v[14:15], v[16:17], v[14:15]
	v_fma_f64 v[16:17], s[54:55], v[126:127], v[28:29]
	v_mul_f64 v[30:31], v[58:59], s[14:15]
	;; [unrolled: 3-line block ×3, first 2 shown]
	v_add_f64 v[4:5], v[4:5], v[2:3]
	v_fma_f64 v[2:3], s[20:21], v[166:167], v[42:43]
	v_add_f64 v[14:15], v[16:17], v[14:15]
	v_fma_f64 v[16:17], s[34:35], v[152:153], v[32:33]
	v_mul_f64 v[34:35], v[180:181], s[50:51]
	v_add_f64 v[2:3], v[2:3], v[36:37]
	v_add_f64 v[16:17], v[10:11], v[16:17]
	v_fma_f64 v[36:37], s[16:17], v[144:145], v[34:35]
	v_add_f64 v[16:17], v[36:37], v[16:17]
	v_mul_f64 v[36:37], v[172:173], s[30:31]
	v_fmac_f64_e32 v[26:27], s[42:43], v[146:147]
	v_fma_f64 v[38:39], s[20:21], v[142:143], v[36:37]
	v_fmac_f64_e32 v[24:25], s[50:51], v[136:137]
	v_add_f64 v[26:27], v[12:13], v[26:27]
	v_add_f64 v[16:17], v[38:39], v[16:17]
	v_mul_f64 v[38:39], v[168:169], s[58:59]
	v_add_f64 v[24:25], v[24:25], v[26:27]
	v_fmac_f64_e32 v[22:23], s[30:31], v[134:135]
	v_fma_f64 v[40:41], s[28:29], v[156:157], v[38:39]
	v_add_f64 v[22:23], v[22:23], v[24:25]
	v_fmac_f64_e32 v[20:21], s[58:59], v[130:131]
	v_add_f64 v[16:17], v[40:41], v[16:17]
	v_mul_f64 v[40:41], v[164:165], s[18:19]
	v_add_f64 v[20:21], v[20:21], v[22:23]
	v_fmac_f64_e32 v[18:19], s[18:19], v[128:129]
	v_fma_f64 v[22:23], v[152:153], s[34:35], -v[32:33]
	v_fma_f64 v[42:43], s[10:11], v[154:155], v[40:41]
	v_add_f64 v[18:19], v[18:19], v[20:21]
	v_fma_f64 v[20:21], v[144:145], s[16:17], -v[34:35]
	v_add_f64 v[22:23], v[10:11], v[22:23]
	v_add_f64 v[16:17], v[42:43], v[16:17]
	v_mul_f64 v[42:43], v[160:161], s[44:45]
	v_add_f64 v[20:21], v[20:21], v[22:23]
	v_fma_f64 v[22:23], v[142:143], s[20:21], -v[36:37]
	v_fma_f64 v[44:45], s[38:39], v[150:151], v[42:43]
	v_add_f64 v[20:21], v[22:23], v[20:21]
	v_fma_f64 v[22:23], v[156:157], s[28:29], -v[38:39]
	v_add_f64 v[16:17], v[44:45], v[16:17]
	v_mul_f64 v[44:45], v[176:177], s[56:57]
	v_fmac_f64_e32 v[28:29], s[44:45], v[126:127]
	v_add_f64 v[20:21], v[22:23], v[20:21]
	v_fma_f64 v[22:23], v[154:155], s[10:11], -v[40:41]
	v_fma_f64 v[46:47], s[14:15], v[148:149], v[44:45]
	v_mul_f64 v[48:49], v[178:179], s[24:25]
	v_add_f64 v[18:19], v[28:29], v[18:19]
	v_fmac_f64_e32 v[30:31], s[56:57], v[124:125]
	v_add_f64 v[20:21], v[22:23], v[20:21]
	v_fma_f64 v[22:23], v[150:151], s[38:39], -v[42:43]
	v_add_f64 v[46:47], v[46:47], v[16:17]
	v_fma_f64 v[16:17], s[48:49], v[174:175], v[48:49]
	v_mul_f64 v[50:51], v[182:183], s[36:37]
	v_add_f64 v[18:19], v[30:31], v[18:19]
	v_add_f64 v[22:23], v[22:23], v[20:21]
	v_fmac_f64_e32 v[48:49], s[36:37], v[174:175]
	v_fma_f64 v[24:25], v[148:149], s[14:15], -v[44:45]
	v_add_f64 v[20:21], v[48:49], v[18:19]
	v_fma_f64 v[18:19], v[166:167], s[24:25], -v[50:51]
	v_add_f64 v[22:23], v[24:25], v[22:23]
	v_mul_f64 v[28:29], v[170:171], s[28:29]
	v_add_f64 v[18:19], v[18:19], v[22:23]
	v_mul_f64 v[26:27], v[162:163], s[24:25]
	v_fma_f64 v[22:23], s[58:59], v[146:147], v[28:29]
	v_add_f64 v[22:23], v[12:13], v[22:23]
	v_fma_f64 v[24:25], s[36:37], v[136:137], v[26:27]
	v_mul_f64 v[30:31], v[158:159], s[10:11]
	v_add_f64 v[22:23], v[24:25], v[22:23]
	v_fma_f64 v[24:25], s[52:53], v[134:135], v[30:31]
	v_mul_f64 v[32:33], v[140:141], s[34:35]
	;; [unrolled: 3-line block ×7, first 2 shown]
	v_add_f64 v[24:25], v[10:11], v[24:25]
	v_fma_f64 v[44:45], s[24:25], v[144:145], v[42:43]
	v_add_f64 v[16:17], v[16:17], v[14:15]
	v_fma_f64 v[14:15], s[24:25], v[166:167], v[50:51]
	v_add_f64 v[24:25], v[44:45], v[24:25]
	v_mul_f64 v[44:45], v[172:173], s[18:19]
	v_add_f64 v[14:15], v[14:15], v[46:47]
	v_fma_f64 v[46:47], s[10:11], v[142:143], v[44:45]
	v_fmac_f64_e32 v[28:29], s[40:41], v[146:147]
	v_add_f64 v[24:25], v[46:47], v[24:25]
	v_mul_f64 v[46:47], v[168:169], s[42:43]
	v_fmac_f64_e32 v[26:27], s[48:49], v[136:137]
	v_add_f64 v[28:29], v[12:13], v[28:29]
	v_fma_f64 v[48:49], s[34:35], v[156:157], v[46:47]
	v_add_f64 v[26:27], v[26:27], v[28:29]
	v_fmac_f64_e32 v[30:31], s[18:19], v[134:135]
	v_add_f64 v[24:25], v[48:49], v[24:25]
	v_mul_f64 v[48:49], v[164:165], s[60:61]
	v_add_f64 v[26:27], v[30:31], v[26:27]
	v_fma_f64 v[30:31], v[152:153], s[28:29], -v[40:41]
	v_fma_f64 v[50:51], s[20:21], v[154:155], v[48:49]
	v_fma_f64 v[28:29], v[144:145], s[24:25], -v[42:43]
	v_add_f64 v[30:31], v[10:11], v[30:31]
	v_add_f64 v[24:25], v[50:51], v[24:25]
	v_mul_f64 v[50:51], v[160:161], s[22:23]
	v_fmac_f64_e32 v[32:33], s[42:43], v[130:131]
	v_add_f64 v[28:29], v[28:29], v[30:31]
	v_fma_f64 v[30:31], v[142:143], s[10:11], -v[44:45]
	v_fma_f64 v[52:53], s[14:15], v[150:151], v[50:51]
	v_add_f64 v[26:27], v[32:33], v[26:27]
	v_fmac_f64_e32 v[34:35], s[60:61], v[128:129]
	v_add_f64 v[28:29], v[30:31], v[28:29]
	v_fma_f64 v[30:31], v[156:157], s[34:35], -v[46:47]
	v_add_f64 v[24:25], v[52:53], v[24:25]
	v_mul_f64 v[52:53], v[176:177], s[44:45]
	v_add_f64 v[26:27], v[34:35], v[26:27]
	v_fmac_f64_e32 v[36:37], s[22:23], v[126:127]
	v_add_f64 v[28:29], v[30:31], v[28:29]
	v_fma_f64 v[30:31], v[154:155], s[20:21], -v[48:49]
	v_fma_f64 v[54:55], s[38:39], v[148:149], v[52:53]
	v_mul_f64 v[56:57], v[178:179], s[16:17]
	v_add_f64 v[26:27], v[36:37], v[26:27]
	v_fmac_f64_e32 v[38:39], s[44:45], v[124:125]
	v_add_f64 v[28:29], v[30:31], v[28:29]
	v_fma_f64 v[30:31], v[150:151], s[14:15], -v[50:51]
	v_add_f64 v[54:55], v[54:55], v[24:25]
	v_fma_f64 v[24:25], s[26:27], v[174:175], v[56:57]
	v_mul_f64 v[188:189], v[182:183], s[50:51]
	v_add_f64 v[26:27], v[38:39], v[26:27]
	v_add_f64 v[28:29], v[30:31], v[28:29]
	v_fma_f64 v[30:31], v[148:149], s[38:39], -v[52:53]
	v_fmac_f64_e32 v[56:57], s[50:51], v[174:175]
	v_add_f64 v[28:29], v[30:31], v[28:29]
	v_add_f64 v[32:33], v[56:57], v[26:27]
	v_fma_f64 v[26:27], v[166:167], s[16:17], -v[188:189]
	v_mul_f64 v[34:35], v[170:171], s[24:25]
	v_add_f64 v[30:31], v[26:27], v[28:29]
	v_fma_f64 v[26:27], s[48:49], v[146:147], v[34:35]
	v_mul_f64 v[36:37], v[162:163], s[34:35]
	v_add_f64 v[26:27], v[12:13], v[26:27]
	v_fma_f64 v[28:29], s[42:43], v[136:137], v[36:37]
	;; [unrolled: 3-line block ×9, first 2 shown]
	v_add_f64 v[24:25], v[24:25], v[22:23]
	v_fma_f64 v[22:23], s[16:17], v[166:167], v[188:189]
	v_add_f64 v[28:29], v[52:53], v[28:29]
	v_mul_f64 v[52:53], v[172:173], s[56:57]
	v_add_f64 v[22:23], v[22:23], v[54:55]
	v_fma_f64 v[54:55], s[14:15], v[142:143], v[52:53]
	v_fmac_f64_e32 v[34:35], s[36:37], v[146:147]
	v_add_f64 v[28:29], v[54:55], v[28:29]
	v_mul_f64 v[54:55], v[168:169], s[26:27]
	v_fmac_f64_e32 v[36:37], s[46:47], v[136:137]
	v_add_f64 v[34:35], v[12:13], v[34:35]
	v_fma_f64 v[56:57], s[16:17], v[156:157], v[54:55]
	v_add_f64 v[34:35], v[36:37], v[34:35]
	v_fmac_f64_e32 v[38:39], s[56:57], v[134:135]
	v_add_f64 v[28:29], v[56:57], v[28:29]
	v_mul_f64 v[56:57], v[164:165], s[44:45]
	v_add_f64 v[34:35], v[38:39], v[34:35]
	v_fma_f64 v[38:39], v[152:153], s[24:25], -v[48:49]
	v_fma_f64 v[188:189], s[38:39], v[154:155], v[56:57]
	v_fma_f64 v[36:37], v[144:145], s[34:35], -v[50:51]
	v_add_f64 v[38:39], v[10:11], v[38:39]
	v_add_f64 v[28:29], v[188:189], v[28:29]
	v_mul_f64 v[188:189], v[160:161], s[60:61]
	v_fmac_f64_e32 v[40:41], s[26:27], v[130:131]
	v_add_f64 v[36:37], v[36:37], v[38:39]
	v_fma_f64 v[38:39], v[142:143], s[14:15], -v[52:53]
	v_fma_f64 v[190:191], s[20:21], v[150:151], v[188:189]
	v_add_f64 v[34:35], v[40:41], v[34:35]
	v_fmac_f64_e32 v[42:43], s[44:45], v[128:129]
	v_add_f64 v[36:37], v[38:39], v[36:37]
	v_fma_f64 v[38:39], v[156:157], s[16:17], -v[54:55]
	v_add_f64 v[28:29], v[190:191], v[28:29]
	v_mul_f64 v[190:191], v[176:177], s[18:19]
	v_add_f64 v[34:35], v[42:43], v[34:35]
	v_fmac_f64_e32 v[44:45], s[60:61], v[126:127]
	v_add_f64 v[36:37], v[38:39], v[36:37]
	v_fma_f64 v[38:39], v[154:155], s[38:39], -v[56:57]
	v_fma_f64 v[192:193], s[10:11], v[148:149], v[190:191]
	v_mul_f64 v[194:195], v[178:179], s[28:29]
	v_add_f64 v[34:35], v[44:45], v[34:35]
	v_fmac_f64_e32 v[46:47], s[18:19], v[124:125]
	v_add_f64 v[36:37], v[38:39], v[36:37]
	v_fma_f64 v[38:39], v[150:151], s[20:21], -v[188:189]
	v_add_f64 v[192:193], v[192:193], v[28:29]
	v_fma_f64 v[28:29], s[58:59], v[174:175], v[194:195]
	v_mul_f64 v[196:197], v[182:183], s[40:41]
	v_add_f64 v[34:35], v[46:47], v[34:35]
	v_add_f64 v[36:37], v[38:39], v[36:37]
	v_fma_f64 v[38:39], v[148:149], s[10:11], -v[190:191]
	v_fmac_f64_e32 v[194:195], s[40:41], v[174:175]
	v_add_f64 v[36:37], v[38:39], v[36:37]
	v_add_f64 v[40:41], v[194:195], v[34:35]
	v_fma_f64 v[34:35], v[166:167], s[28:29], -v[196:197]
	v_mul_f64 v[42:43], v[170:171], s[20:21]
	v_add_f64 v[38:39], v[34:35], v[36:37]
	v_fma_f64 v[34:35], s[60:61], v[146:147], v[42:43]
	v_mul_f64 v[44:45], v[162:163], s[38:39]
	v_add_f64 v[34:35], v[12:13], v[34:35]
	v_fma_f64 v[36:37], s[54:55], v[136:137], v[44:45]
	;; [unrolled: 3-line block ×9, first 2 shown]
	v_add_f64 v[28:29], v[28:29], v[26:27]
	v_fma_f64 v[26:27], s[28:29], v[166:167], v[196:197]
	v_add_f64 v[36:37], v[190:191], v[36:37]
	v_mul_f64 v[190:191], v[172:173], s[48:49]
	v_add_f64 v[26:27], v[26:27], v[192:193]
	v_fma_f64 v[192:193], s[24:25], v[142:143], v[190:191]
	v_fmac_f64_e32 v[42:43], s[30:31], v[146:147]
	v_add_f64 v[36:37], v[192:193], v[36:37]
	v_mul_f64 v[192:193], v[168:169], s[52:53]
	v_fmac_f64_e32 v[44:45], s[44:45], v[136:137]
	v_add_f64 v[42:43], v[12:13], v[42:43]
	v_fma_f64 v[194:195], s[10:11], v[156:157], v[192:193]
	v_add_f64 v[42:43], v[44:45], v[42:43]
	v_fmac_f64_e32 v[46:47], s[48:49], v[134:135]
	v_add_f64 v[36:37], v[194:195], v[36:37]
	v_mul_f64 v[194:195], v[164:165], s[26:27]
	v_add_f64 v[42:43], v[46:47], v[42:43]
	v_fma_f64 v[46:47], v[152:153], s[20:21], -v[56:57]
	v_fma_f64 v[196:197], s[16:17], v[154:155], v[194:195]
	v_fma_f64 v[44:45], v[144:145], s[38:39], -v[188:189]
	v_add_f64 v[46:47], v[10:11], v[46:47]
	v_add_f64 v[36:37], v[196:197], v[36:37]
	v_mul_f64 v[196:197], v[160:161], s[42:43]
	v_fmac_f64_e32 v[48:49], s[52:53], v[130:131]
	v_add_f64 v[44:45], v[44:45], v[46:47]
	v_fma_f64 v[46:47], v[142:143], s[24:25], -v[190:191]
	v_fma_f64 v[198:199], s[34:35], v[150:151], v[196:197]
	v_add_f64 v[42:43], v[48:49], v[42:43]
	v_fmac_f64_e32 v[50:51], s[26:27], v[128:129]
	v_add_f64 v[44:45], v[46:47], v[44:45]
	v_fma_f64 v[46:47], v[156:157], s[10:11], -v[192:193]
	v_add_f64 v[36:37], v[198:199], v[36:37]
	v_mul_f64 v[198:199], v[176:177], s[58:59]
	v_add_f64 v[42:43], v[50:51], v[42:43]
	v_fmac_f64_e32 v[52:53], s[42:43], v[126:127]
	v_add_f64 v[44:45], v[46:47], v[44:45]
	v_fma_f64 v[46:47], v[154:155], s[16:17], -v[194:195]
	v_fma_f64 v[200:201], s[28:29], v[148:149], v[198:199]
	v_mul_f64 v[202:203], v[178:179], s[14:15]
	v_add_f64 v[42:43], v[52:53], v[42:43]
	v_fmac_f64_e32 v[54:55], s[58:59], v[124:125]
	v_add_f64 v[44:45], v[46:47], v[44:45]
	v_fma_f64 v[46:47], v[150:151], s[34:35], -v[196:197]
	v_add_f64 v[200:201], v[200:201], v[36:37]
	v_fma_f64 v[36:37], s[22:23], v[174:175], v[202:203]
	v_mul_f64 v[204:205], v[182:183], s[56:57]
	v_add_f64 v[42:43], v[54:55], v[42:43]
	v_add_f64 v[44:45], v[46:47], v[44:45]
	v_fma_f64 v[46:47], v[148:149], s[28:29], -v[198:199]
	v_fmac_f64_e32 v[202:203], s[56:57], v[174:175]
	v_add_f64 v[44:45], v[46:47], v[44:45]
	v_add_f64 v[48:49], v[202:203], v[42:43]
	v_fma_f64 v[42:43], v[166:167], s[14:15], -v[204:205]
	v_mul_f64 v[50:51], v[170:171], s[16:17]
	v_add_f64 v[46:47], v[42:43], v[44:45]
	v_fma_f64 v[42:43], s[50:51], v[146:147], v[50:51]
	v_mul_f64 v[52:53], v[162:163], s[28:29]
	v_add_f64 v[42:43], v[12:13], v[42:43]
	v_fma_f64 v[44:45], s[58:59], v[136:137], v[52:53]
	;; [unrolled: 3-line block ×9, first 2 shown]
	v_add_f64 v[36:37], v[36:37], v[34:35]
	v_fma_f64 v[34:35], s[14:15], v[166:167], v[204:205]
	v_add_f64 v[44:45], v[198:199], v[44:45]
	v_mul_f64 v[198:199], v[172:173], s[54:55]
	v_add_f64 v[34:35], v[34:35], v[200:201]
	v_fma_f64 v[200:201], s[38:39], v[142:143], v[198:199]
	v_fmac_f64_e32 v[50:51], s[26:27], v[146:147]
	v_add_f64 v[44:45], v[200:201], v[44:45]
	v_mul_f64 v[200:201], v[168:169], s[48:49]
	v_fmac_f64_e32 v[52:53], s[40:41], v[136:137]
	v_add_f64 v[50:51], v[12:13], v[50:51]
	v_fma_f64 v[202:203], s[24:25], v[156:157], v[200:201]
	v_add_f64 v[50:51], v[52:53], v[50:51]
	v_fmac_f64_e32 v[54:55], s[54:55], v[134:135]
	v_add_f64 v[44:45], v[202:203], v[44:45]
	v_mul_f64 v[202:203], v[164:165], s[56:57]
	v_add_f64 v[50:51], v[54:55], v[50:51]
	v_fma_f64 v[54:55], v[152:153], s[16:17], -v[194:195]
	v_fma_f64 v[204:205], s[14:15], v[154:155], v[202:203]
	v_fma_f64 v[52:53], v[144:145], s[28:29], -v[196:197]
	v_add_f64 v[54:55], v[10:11], v[54:55]
	v_add_f64 v[44:45], v[204:205], v[44:45]
	v_mul_f64 v[204:205], v[160:161], s[18:19]
	v_fmac_f64_e32 v[56:57], s[48:49], v[130:131]
	v_add_f64 v[52:53], v[52:53], v[54:55]
	v_fma_f64 v[54:55], v[142:143], s[38:39], -v[198:199]
	v_fma_f64 v[206:207], s[10:11], v[150:151], v[204:205]
	v_add_f64 v[50:51], v[56:57], v[50:51]
	v_fmac_f64_e32 v[188:189], s[56:57], v[128:129]
	v_add_f64 v[52:53], v[54:55], v[52:53]
	v_fma_f64 v[54:55], v[156:157], s[24:25], -v[200:201]
	v_add_f64 v[44:45], v[206:207], v[44:45]
	v_mul_f64 v[206:207], v[176:177], s[30:31]
	v_add_f64 v[50:51], v[188:189], v[50:51]
	v_fmac_f64_e32 v[190:191], s[18:19], v[126:127]
	v_add_f64 v[52:53], v[54:55], v[52:53]
	v_fma_f64 v[54:55], v[154:155], s[14:15], -v[202:203]
	v_fma_f64 v[208:209], s[20:21], v[148:149], v[206:207]
	v_mul_f64 v[210:211], v[178:179], s[34:35]
	v_add_f64 v[50:51], v[190:191], v[50:51]
	v_fmac_f64_e32 v[192:193], s[30:31], v[124:125]
	v_add_f64 v[52:53], v[54:55], v[52:53]
	v_fma_f64 v[54:55], v[150:151], s[10:11], -v[204:205]
	v_add_f64 v[208:209], v[208:209], v[44:45]
	v_fma_f64 v[44:45], s[46:47], v[174:175], v[210:211]
	v_mul_f64 v[212:213], v[182:183], s[42:43]
	v_add_f64 v[50:51], v[192:193], v[50:51]
	v_add_f64 v[52:53], v[54:55], v[52:53]
	v_fma_f64 v[54:55], v[148:149], s[20:21], -v[206:207]
	v_fmac_f64_e32 v[210:211], s[42:43], v[174:175]
	v_add_f64 v[52:53], v[54:55], v[52:53]
	v_add_f64 v[56:57], v[210:211], v[50:51]
	v_fma_f64 v[50:51], v[166:167], s[34:35], -v[212:213]
	v_mul_f64 v[188:189], v[170:171], s[14:15]
	v_add_f64 v[54:55], v[50:51], v[52:53]
	v_fma_f64 v[50:51], s[56:57], v[146:147], v[188:189]
	v_mul_f64 v[190:191], v[162:163], s[20:21]
	v_add_f64 v[50:51], v[12:13], v[50:51]
	v_fma_f64 v[52:53], s[60:61], v[136:137], v[190:191]
	;; [unrolled: 3-line block ×9, first 2 shown]
	v_add_f64 v[44:45], v[44:45], v[42:43]
	v_fma_f64 v[42:43], s[34:35], v[166:167], v[212:213]
	v_add_f64 v[52:53], v[206:207], v[52:53]
	v_mul_f64 v[206:207], v[172:173], s[40:41]
	v_add_f64 v[42:43], v[42:43], v[208:209]
	v_fma_f64 v[208:209], s[28:29], v[142:143], v[206:207]
	v_fmac_f64_e32 v[188:189], s[22:23], v[146:147]
	v_add_f64 v[52:53], v[208:209], v[52:53]
	v_mul_f64 v[208:209], v[168:169], s[44:45]
	v_fmac_f64_e32 v[190:191], s[30:31], v[136:137]
	v_add_f64 v[188:189], v[12:13], v[188:189]
	v_fma_f64 v[210:211], s[38:39], v[156:157], v[208:209]
	v_add_f64 v[188:189], v[190:191], v[188:189]
	v_fmac_f64_e32 v[192:193], s[40:41], v[134:135]
	v_add_f64 v[52:53], v[210:211], v[52:53]
	v_mul_f64 v[210:211], v[164:165], s[46:47]
	v_add_f64 v[188:189], v[192:193], v[188:189]
	v_fma_f64 v[192:193], v[152:153], s[14:15], -v[202:203]
	v_fma_f64 v[212:213], s[34:35], v[154:155], v[210:211]
	v_fma_f64 v[190:191], v[144:145], s[20:21], -v[204:205]
	v_add_f64 v[192:193], v[10:11], v[192:193]
	v_add_f64 v[52:53], v[212:213], v[52:53]
	v_mul_f64 v[212:213], v[160:161], s[48:49]
	v_fmac_f64_e32 v[194:195], s[44:45], v[130:131]
	v_add_f64 v[190:191], v[190:191], v[192:193]
	v_fma_f64 v[192:193], v[142:143], s[28:29], -v[206:207]
	v_fma_f64 v[214:215], s[24:25], v[150:151], v[212:213]
	v_add_f64 v[188:189], v[194:195], v[188:189]
	v_fmac_f64_e32 v[196:197], s[46:47], v[128:129]
	v_add_f64 v[190:191], v[192:193], v[190:191]
	v_fma_f64 v[192:193], v[156:157], s[38:39], -v[208:209]
	v_add_f64 v[52:53], v[214:215], v[52:53]
	v_mul_f64 v[214:215], v[176:177], s[50:51]
	v_add_f64 v[188:189], v[196:197], v[188:189]
	v_fmac_f64_e32 v[198:199], s[48:49], v[126:127]
	v_add_f64 v[190:191], v[192:193], v[190:191]
	v_fma_f64 v[192:193], v[154:155], s[34:35], -v[210:211]
	v_fma_f64 v[216:217], s[16:17], v[148:149], v[214:215]
	v_mul_f64 v[218:219], v[178:179], s[10:11]
	v_add_f64 v[188:189], v[198:199], v[188:189]
	v_fmac_f64_e32 v[200:201], s[50:51], v[124:125]
	v_add_f64 v[190:191], v[192:193], v[190:191]
	v_fma_f64 v[192:193], v[150:151], s[24:25], -v[212:213]
	v_add_f64 v[216:217], v[216:217], v[52:53]
	v_fma_f64 v[52:53], s[18:19], v[174:175], v[218:219]
	v_mul_f64 v[220:221], v[182:183], s[52:53]
	v_add_f64 v[188:189], v[200:201], v[188:189]
	v_add_f64 v[190:191], v[192:193], v[190:191]
	v_fma_f64 v[192:193], v[148:149], s[16:17], -v[214:215]
	v_fmac_f64_e32 v[218:219], s[52:53], v[174:175]
	v_add_f64 v[192:193], v[192:193], v[190:191]
	v_add_f64 v[190:191], v[218:219], v[188:189]
	v_fma_f64 v[188:189], v[166:167], s[10:11], -v[220:221]
	v_mul_f64 v[170:171], v[170:171], s[10:11]
	v_add_f64 v[188:189], v[188:189], v[192:193]
	v_mul_f64 v[162:163], v[162:163], s[14:15]
	v_fma_f64 v[192:193], s[52:53], v[146:147], v[170:171]
	v_add_f64 v[192:193], v[12:13], v[192:193]
	v_fma_f64 v[194:195], s[56:57], v[136:137], v[162:163]
	v_mul_f64 v[158:159], v[158:159], s[16:17]
	v_add_f64 v[192:193], v[194:195], v[192:193]
	v_fma_f64 v[194:195], s[50:51], v[134:135], v[158:159]
	v_mul_f64 v[140:141], v[140:141], s[20:21]
	v_add_f64 v[192:193], v[194:195], v[192:193]
	v_fma_f64 v[194:195], s[60:61], v[130:131], v[140:141]
	v_mul_f64 v[138:139], v[138:139], s[24:25]
	v_add_f64 v[192:193], v[194:195], v[192:193]
	v_fma_f64 v[194:195], s[48:49], v[128:129], v[138:139]
	v_add_f64 v[192:193], v[194:195], v[192:193]
	v_mul_f64 v[194:195], v[60:61], s[28:29]
	v_fma_f64 v[60:61], s[58:59], v[126:127], v[194:195]
	v_add_f64 v[60:61], v[60:61], v[192:193]
	v_mul_f64 v[192:193], v[58:59], s[34:35]
	v_fma_f64 v[58:59], s[46:47], v[124:125], v[192:193]
	v_mul_f64 v[184:185], v[184:185], s[18:19]
	v_add_f64 v[58:59], v[58:59], v[60:61]
	v_mul_f64 v[180:181], v[180:181], s[22:23]
	v_fma_f64 v[60:61], s[10:11], v[152:153], v[184:185]
	v_fmac_f64_e32 v[170:171], s[18:19], v[146:147]
	v_add_f64 v[60:61], v[10:11], v[60:61]
	v_fma_f64 v[196:197], s[14:15], v[144:145], v[180:181]
	v_mul_f64 v[172:173], v[172:173], s[26:27]
	v_fmac_f64_e32 v[192:193], s[42:43], v[124:125]
	v_fmac_f64_e32 v[162:163], s[22:23], v[136:137]
	v_add_f64 v[124:125], v[12:13], v[170:171]
	v_add_f64 v[60:61], v[196:197], v[60:61]
	v_fma_f64 v[196:197], s[16:17], v[142:143], v[172:173]
	v_mul_f64 v[168:169], v[168:169], s[30:31]
	v_fmac_f64_e32 v[158:159], s[26:27], v[134:135]
	v_add_f64 v[124:125], v[162:163], v[124:125]
	v_add_f64 v[60:61], v[196:197], v[60:61]
	v_fma_f64 v[196:197], s[20:21], v[156:157], v[168:169]
	v_mul_f64 v[164:165], v[164:165], s[36:37]
	v_fmac_f64_e32 v[140:141], s[30:31], v[130:131]
	v_add_f64 v[124:125], v[158:159], v[124:125]
	v_add_f64 v[60:61], v[196:197], v[60:61]
	v_fma_f64 v[196:197], s[24:25], v[154:155], v[164:165]
	v_mul_f64 v[160:161], v[160:161], s[40:41]
	v_fmac_f64_e32 v[138:139], s[36:37], v[128:129]
	v_add_f64 v[124:125], v[140:141], v[124:125]
	v_add_f64 v[60:61], v[196:197], v[60:61]
	v_fma_f64 v[196:197], s[28:29], v[150:151], v[160:161]
	v_mul_f64 v[176:177], v[176:177], s[42:43]
	v_fmac_f64_e32 v[194:195], s[40:41], v[126:127]
	v_add_f64 v[124:125], v[138:139], v[124:125]
	v_add_f64 v[60:61], v[196:197], v[60:61]
	v_fma_f64 v[196:197], s[34:35], v[148:149], v[176:177]
	v_mul_f64 v[178:179], v[178:179], s[38:39]
	v_add_f64 v[124:125], v[194:195], v[124:125]
	v_add_f64 v[12:13], v[12:13], v[132:133]
	;; [unrolled: 1-line block ×3, first 2 shown]
	v_fma_f64 v[60:61], s[54:55], v[174:175], v[178:179]
	v_fmac_f64_e32 v[178:179], s[44:45], v[174:175]
	v_add_f64 v[124:125], v[192:193], v[124:125]
	v_add_f64 v[12:13], v[12:13], v[118:119]
	;; [unrolled: 1-line block ×3, first 2 shown]
	v_fma_f64 v[124:125], v[142:143], s[16:17], -v[172:173]
	v_fma_f64 v[142:143], v[152:153], s[10:11], -v[184:185]
	v_add_f64 v[12:13], v[12:13], v[110:111]
	v_add_f64 v[142:143], v[10:11], v[142:143]
	;; [unrolled: 1-line block ×11, first 2 shown]
	v_fma_f64 v[50:51], s[10:11], v[166:167], v[220:221]
	v_add_f64 v[12:13], v[12:13], v[62:63]
	v_add_f64 v[10:11], v[10:11], v[96:97]
	v_mad_u64_u32 v[62:63], s[10:11], s4, v1, 0
	v_add_f64 v[12:13], v[12:13], v[64:65]
	v_add_f64 v[10:11], v[10:11], v[90:91]
	v_mov_b32_e32 v64, v63
	v_add_f64 v[10:11], v[10:11], v[78:79]
	v_mad_u64_u32 v[64:65], s[4:5], s5, v1, v[64:65]
	v_add_f64 v[10:11], v[10:11], v[68:69]
	s_lshl_b64 s[4:5], s[12:13], 4
	v_add_f64 v[10:11], v[10:11], v[70:71]
	s_add_u32 s3, s0, s4
	v_fma_f64 v[140:141], v[144:145], s[14:15], -v[180:181]
	v_add_f64 v[12:13], v[12:13], v[66:67]
	v_add_f64 v[10:11], v[10:11], v[76:77]
	s_addc_u32 s4, s1, s5
	s_lshl_b64 s[0:1], s[6:7], 4
	v_add_f64 v[140:141], v[140:141], v[142:143]
	v_add_f64 v[12:13], v[12:13], v[74:75]
	;; [unrolled: 1-line block ×3, first 2 shown]
	s_add_u32 s3, s3, s0
	v_fma_f64 v[138:139], v[156:157], s[20:21], -v[168:169]
	v_add_f64 v[124:125], v[124:125], v[140:141]
	v_add_f64 v[12:13], v[12:13], v[80:81]
	;; [unrolled: 1-line block ×3, first 2 shown]
	s_addc_u32 s4, s4, s1
	s_lshl_b64 s[0:1], s[8:9], 4
	v_fma_f64 v[136:137], v[154:155], s[24:25], -v[164:165]
	v_add_f64 v[124:125], v[138:139], v[124:125]
	v_add_f64 v[12:13], v[12:13], v[86:87]
	;; [unrolled: 1-line block ×3, first 2 shown]
	s_add_u32 s0, s3, s0
	v_fma_f64 v[134:135], v[150:151], s[28:29], -v[160:161]
	v_add_f64 v[124:125], v[136:137], v[124:125]
	v_add_f64 v[12:13], v[12:13], v[106:107]
	;; [unrolled: 1-line block ×3, first 2 shown]
	v_mov_b32_e32 v63, v64
	s_addc_u32 s1, s4, s1
	v_mul_f64 v[182:183], v[182:183], s[44:45]
	v_fma_f64 v[130:131], v[148:149], s[34:35], -v[176:177]
	v_add_f64 v[124:125], v[134:135], v[124:125]
	v_add_f64 v[12:13], v[12:13], v[112:113]
	;; [unrolled: 1-line block ×3, first 2 shown]
	v_mov_b32_e32 v1, 0
	v_lshl_add_u64 v[62:63], v[62:63], 4, s[0:1]
	s_mul_i32 s0, s2, 17
	v_fma_f64 v[128:129], v[166:167], s[38:39], -v[182:183]
	v_add_f64 v[124:125], v[130:131], v[124:125]
	v_add_f64 v[12:13], v[12:13], v[120:121]
	;; [unrolled: 1-line block ×3, first 2 shown]
	v_lshl_add_u64 v[64:65], v[0:1], 4, v[62:63]
	v_add_u32_e32 v0, s0, v0
	v_add_f64 v[124:125], v[128:129], v[124:125]
	global_store_dwordx4 v[64:65], v[10:13], off
	v_add_f64 v[60:61], v[60:61], v[58:59]
	v_fma_f64 v[58:59], s[38:39], v[166:167], v[182:183]
	v_lshl_add_u64 v[10:11], v[0:1], 4, v[62:63]
	v_add_u32_e32 v0, s0, v0
	global_store_dwordx4 v[10:11], v[124:127], off
	v_lshl_add_u64 v[10:11], v[0:1], 4, v[62:63]
	v_add_u32_e32 v0, s0, v0
	global_store_dwordx4 v[10:11], v[188:191], off
	;; [unrolled: 3-line block ×8, first 2 shown]
	v_add_f64 v[50:51], v[50:51], v[216:217]
	v_add_f64 v[58:59], v[58:59], v[196:197]
	v_lshl_add_u64 v[6:7], v[0:1], 4, v[62:63]
	v_add_u32_e32 v0, s0, v0
	global_store_dwordx4 v[6:7], v[2:5], off
	s_nop 1
	v_lshl_add_u64 v[2:3], v[0:1], 4, v[62:63]
	v_add_u32_e32 v0, s0, v0
	global_store_dwordx4 v[2:3], v[14:17], off
	v_lshl_add_u64 v[2:3], v[0:1], 4, v[62:63]
	v_add_u32_e32 v0, s0, v0
	global_store_dwordx4 v[2:3], v[22:25], off
	;; [unrolled: 3-line block ×5, first 2 shown]
	v_lshl_add_u64 v[2:3], v[0:1], 4, v[62:63]
	v_add_u32_e32 v0, s0, v0
	v_lshl_add_u64 v[0:1], v[0:1], 4, v[62:63]
	global_store_dwordx4 v[2:3], v[50:53], off
	global_store_dwordx4 v[0:1], v[58:61], off
.LBB0_8:
	s_endpgm
	.section	.rodata,"a",@progbits
	.p2align	6, 0x0
	.amdhsa_kernel fft_rtc_fwd_len289_factors_17_17_wgs_119_tpt_17_dp_op_CI_CI_sbrc_z_xy_unaligned_dirReg
		.amdhsa_group_segment_fixed_size 0
		.amdhsa_private_segment_fixed_size 0
		.amdhsa_kernarg_size 104
		.amdhsa_user_sgpr_count 2
		.amdhsa_user_sgpr_dispatch_ptr 0
		.amdhsa_user_sgpr_queue_ptr 0
		.amdhsa_user_sgpr_kernarg_segment_ptr 1
		.amdhsa_user_sgpr_dispatch_id 0
		.amdhsa_user_sgpr_kernarg_preload_length 0
		.amdhsa_user_sgpr_kernarg_preload_offset 0
		.amdhsa_user_sgpr_private_segment_size 0
		.amdhsa_uses_dynamic_stack 0
		.amdhsa_enable_private_segment 0
		.amdhsa_system_sgpr_workgroup_id_x 1
		.amdhsa_system_sgpr_workgroup_id_y 0
		.amdhsa_system_sgpr_workgroup_id_z 0
		.amdhsa_system_sgpr_workgroup_info 0
		.amdhsa_system_vgpr_workitem_id 0
		.amdhsa_next_free_vgpr 222
		.amdhsa_next_free_sgpr 66
		.amdhsa_accum_offset 224
		.amdhsa_reserve_vcc 1
		.amdhsa_float_round_mode_32 0
		.amdhsa_float_round_mode_16_64 0
		.amdhsa_float_denorm_mode_32 3
		.amdhsa_float_denorm_mode_16_64 3
		.amdhsa_dx10_clamp 1
		.amdhsa_ieee_mode 1
		.amdhsa_fp16_overflow 0
		.amdhsa_tg_split 0
		.amdhsa_exception_fp_ieee_invalid_op 0
		.amdhsa_exception_fp_denorm_src 0
		.amdhsa_exception_fp_ieee_div_zero 0
		.amdhsa_exception_fp_ieee_overflow 0
		.amdhsa_exception_fp_ieee_underflow 0
		.amdhsa_exception_fp_ieee_inexact 0
		.amdhsa_exception_int_div_zero 0
	.end_amdhsa_kernel
	.text
.Lfunc_end0:
	.size	fft_rtc_fwd_len289_factors_17_17_wgs_119_tpt_17_dp_op_CI_CI_sbrc_z_xy_unaligned_dirReg, .Lfunc_end0-fft_rtc_fwd_len289_factors_17_17_wgs_119_tpt_17_dp_op_CI_CI_sbrc_z_xy_unaligned_dirReg
                                        ; -- End function
	.section	.AMDGPU.csdata,"",@progbits
; Kernel info:
; codeLenInByte = 15656
; NumSgprs: 72
; NumVgprs: 222
; NumAgprs: 0
; TotalNumVgprs: 222
; ScratchSize: 0
; MemoryBound: 0
; FloatMode: 240
; IeeeMode: 1
; LDSByteSize: 0 bytes/workgroup (compile time only)
; SGPRBlocks: 8
; VGPRBlocks: 27
; NumSGPRsForWavesPerEU: 72
; NumVGPRsForWavesPerEU: 222
; AccumOffset: 224
; Occupancy: 2
; WaveLimiterHint : 1
; COMPUTE_PGM_RSRC2:SCRATCH_EN: 0
; COMPUTE_PGM_RSRC2:USER_SGPR: 2
; COMPUTE_PGM_RSRC2:TRAP_HANDLER: 0
; COMPUTE_PGM_RSRC2:TGID_X_EN: 1
; COMPUTE_PGM_RSRC2:TGID_Y_EN: 0
; COMPUTE_PGM_RSRC2:TGID_Z_EN: 0
; COMPUTE_PGM_RSRC2:TIDIG_COMP_CNT: 0
; COMPUTE_PGM_RSRC3_GFX90A:ACCUM_OFFSET: 55
; COMPUTE_PGM_RSRC3_GFX90A:TG_SPLIT: 0
	.text
	.p2alignl 6, 3212836864
	.fill 256, 4, 3212836864
	.type	__hip_cuid_9a6445973d5d4602,@object ; @__hip_cuid_9a6445973d5d4602
	.section	.bss,"aw",@nobits
	.globl	__hip_cuid_9a6445973d5d4602
__hip_cuid_9a6445973d5d4602:
	.byte	0                               ; 0x0
	.size	__hip_cuid_9a6445973d5d4602, 1

	.ident	"AMD clang version 19.0.0git (https://github.com/RadeonOpenCompute/llvm-project roc-6.4.0 25133 c7fe45cf4b819c5991fe208aaa96edf142730f1d)"
	.section	".note.GNU-stack","",@progbits
	.addrsig
	.addrsig_sym __hip_cuid_9a6445973d5d4602
	.amdgpu_metadata
---
amdhsa.kernels:
  - .agpr_count:     0
    .args:
      - .actual_access:  read_only
        .address_space:  global
        .offset:         0
        .size:           8
        .value_kind:     global_buffer
      - .offset:         8
        .size:           8
        .value_kind:     by_value
      - .actual_access:  read_only
        .address_space:  global
        .offset:         16
        .size:           8
        .value_kind:     global_buffer
      - .actual_access:  read_only
        .address_space:  global
        .offset:         24
        .size:           8
        .value_kind:     global_buffer
      - .actual_access:  read_only
        .address_space:  global
        .offset:         32
        .size:           8
        .value_kind:     global_buffer
      - .offset:         40
        .size:           8
        .value_kind:     by_value
      - .actual_access:  read_only
        .address_space:  global
        .offset:         48
        .size:           8
        .value_kind:     global_buffer
      - .actual_access:  read_only
        .address_space:  global
        .offset:         56
        .size:           8
        .value_kind:     global_buffer
      - .offset:         64
        .size:           4
        .value_kind:     by_value
      - .actual_access:  read_only
        .address_space:  global
        .offset:         72
        .size:           8
        .value_kind:     global_buffer
      - .actual_access:  read_only
        .address_space:  global
        .offset:         80
        .size:           8
        .value_kind:     global_buffer
      - .actual_access:  read_only
        .address_space:  global
        .offset:         88
        .size:           8
        .value_kind:     global_buffer
      - .actual_access:  write_only
        .address_space:  global
        .offset:         96
        .size:           8
        .value_kind:     global_buffer
    .group_segment_fixed_size: 0
    .kernarg_segment_align: 8
    .kernarg_segment_size: 104
    .language:       OpenCL C
    .language_version:
      - 2
      - 0
    .max_flat_workgroup_size: 119
    .name:           fft_rtc_fwd_len289_factors_17_17_wgs_119_tpt_17_dp_op_CI_CI_sbrc_z_xy_unaligned_dirReg
    .private_segment_fixed_size: 0
    .sgpr_count:     72
    .sgpr_spill_count: 0
    .symbol:         fft_rtc_fwd_len289_factors_17_17_wgs_119_tpt_17_dp_op_CI_CI_sbrc_z_xy_unaligned_dirReg.kd
    .uniform_work_group_size: 1
    .uses_dynamic_stack: false
    .vgpr_count:     222
    .vgpr_spill_count: 0
    .wavefront_size: 64
amdhsa.target:   amdgcn-amd-amdhsa--gfx950
amdhsa.version:
  - 1
  - 2
...

	.end_amdgpu_metadata
